;; amdgpu-corpus repo=LLNL/RAJAPerf kind=compiled arch=gfx906 opt=O3
	.amdgcn_target "amdgcn-amd-amdhsa--gfx906"
	.amdhsa_code_object_version 6
	.section	.text._ZN8rajaperf4apps6ltimesILm32ELm4ELm2EEEvN4RAJA8internal13TypedViewBaseIdPdNS2_6detail15LayoutBase_implIN4camp7int_seqIlJLl0ELl1ELl2EEEElLl2EEENS8_4listIJNS0_10ltimes_idx2IZENSD_2IGENSD_2IMEEEEEENS4_IdS5_NS7_INS9_IlJLl0ELl1EEEElLl1EEENSC_IJSG_NSD_2IDEEEEEENS4_IdS5_SB_NSC_IJSE_SF_SL_EEEEESL_SG_SF_SE_,"axG",@progbits,_ZN8rajaperf4apps6ltimesILm32ELm4ELm2EEEvN4RAJA8internal13TypedViewBaseIdPdNS2_6detail15LayoutBase_implIN4camp7int_seqIlJLl0ELl1ELl2EEEElLl2EEENS8_4listIJNS0_10ltimes_idx2IZENSD_2IGENSD_2IMEEEEEENS4_IdS5_NS7_INS9_IlJLl0ELl1EEEElLl1EEENSC_IJSG_NSD_2IDEEEEEENS4_IdS5_SB_NSC_IJSE_SF_SL_EEEEESL_SG_SF_SE_,comdat
	.protected	_ZN8rajaperf4apps6ltimesILm32ELm4ELm2EEEvN4RAJA8internal13TypedViewBaseIdPdNS2_6detail15LayoutBase_implIN4camp7int_seqIlJLl0ELl1ELl2EEEElLl2EEENS8_4listIJNS0_10ltimes_idx2IZENSD_2IGENSD_2IMEEEEEENS4_IdS5_NS7_INS9_IlJLl0ELl1EEEElLl1EEENSC_IJSG_NSD_2IDEEEEEENS4_IdS5_SB_NSC_IJSE_SF_SL_EEEEESL_SG_SF_SE_ ; -- Begin function _ZN8rajaperf4apps6ltimesILm32ELm4ELm2EEEvN4RAJA8internal13TypedViewBaseIdPdNS2_6detail15LayoutBase_implIN4camp7int_seqIlJLl0ELl1ELl2EEEElLl2EEENS8_4listIJNS0_10ltimes_idx2IZENSD_2IGENSD_2IMEEEEEENS4_IdS5_NS7_INS9_IlJLl0ELl1EEEElLl1EEENSC_IJSG_NSD_2IDEEEEEENS4_IdS5_SB_NSC_IJSE_SF_SL_EEEEESL_SG_SF_SE_
	.globl	_ZN8rajaperf4apps6ltimesILm32ELm4ELm2EEEvN4RAJA8internal13TypedViewBaseIdPdNS2_6detail15LayoutBase_implIN4camp7int_seqIlJLl0ELl1ELl2EEEElLl2EEENS8_4listIJNS0_10ltimes_idx2IZENSD_2IGENSD_2IMEEEEEENS4_IdS5_NS7_INS9_IlJLl0ELl1EEEElLl1EEENSC_IJSG_NSD_2IDEEEEEENS4_IdS5_SB_NSC_IJSE_SF_SL_EEEEESL_SG_SF_SE_
	.p2align	8
	.type	_ZN8rajaperf4apps6ltimesILm32ELm4ELm2EEEvN4RAJA8internal13TypedViewBaseIdPdNS2_6detail15LayoutBase_implIN4camp7int_seqIlJLl0ELl1ELl2EEEElLl2EEENS8_4listIJNS0_10ltimes_idx2IZENSD_2IGENSD_2IMEEEEEENS4_IdS5_NS7_INS9_IlJLl0ELl1EEEElLl1EEENSC_IJSG_NSD_2IDEEEEEENS4_IdS5_SB_NSC_IJSE_SF_SL_EEEEESL_SG_SF_SE_,@function
_ZN8rajaperf4apps6ltimesILm32ELm4ELm2EEEvN4RAJA8internal13TypedViewBaseIdPdNS2_6detail15LayoutBase_implIN4camp7int_seqIlJLl0ELl1ELl2EEEElLl2EEENS8_4listIJNS0_10ltimes_idx2IZENSD_2IGENSD_2IMEEEEEENS4_IdS5_NS7_INS9_IlJLl0ELl1EEEElLl1EEENSC_IJSG_NSD_2IDEEEEEENS4_IdS5_SB_NSC_IJSE_SF_SL_EEEEESL_SG_SF_SE_: ; @_ZN8rajaperf4apps6ltimesILm32ELm4ELm2EEEvN4RAJA8internal13TypedViewBaseIdPdNS2_6detail15LayoutBase_implIN4camp7int_seqIlJLl0ELl1ELl2EEEElLl2EEENS8_4listIJNS0_10ltimes_idx2IZENSD_2IGENSD_2IMEEEEEENS4_IdS5_NS7_INS9_IlJLl0ELl1EEEElLl1EEENSC_IJSG_NSD_2IDEEEEEENS4_IdS5_SB_NSC_IJSE_SF_SL_EEEEESL_SG_SF_SE_
; %bb.0:
	s_mov_b32 s0, s7
	s_mov_b32 s7, 0
	s_load_dwordx8 s[12:19], s[4:5], 0x118
	s_lshl_b64 s[2:3], s[6:7], 5
	v_mov_b32_e32 v4, s3
	v_add_co_u32_e32 v3, vcc, s2, v0
	s_mov_b32 s1, s7
	v_addc_co_u32_e32 v4, vcc, 0, v4, vcc
	s_lshl_b64 s[0:1], s[0:1], 2
	v_mov_b32_e32 v5, s1
	v_add_co_u32_e32 v0, vcc, s0, v1
	s_mov_b32 s9, s7
	v_addc_co_u32_e32 v1, vcc, 0, v5, vcc
	s_lshl_b64 s[2:3], s[8:9], 1
	v_mov_b32_e32 v6, s3
	s_waitcnt lgkmcnt(0)
	v_cmp_gt_i64_e32 vcc, s[14:15], v[3:4]
	v_cmp_gt_i64_e64 s[0:1], s[16:17], v[0:1]
	v_add_co_u32_e64 v5, s[2:3], s2, v2
	v_addc_co_u32_e64 v6, s[2:3], 0, v6, s[2:3]
	s_and_b64 s[0:1], vcc, s[0:1]
	v_cmp_gt_i64_e32 vcc, s[18:19], v[5:6]
	v_cmp_gt_i64_e64 s[2:3], s[12:13], 0
	s_and_b64 s[0:1], s[0:1], vcc
	s_and_b64 s[0:1], s[0:1], s[2:3]
	s_and_saveexec_b64 s[2:3], s[0:1]
	s_cbranch_execz .LBB0_3
; %bb.1:
	s_load_dwordx4 s[0:3], s[4:5], 0x20
	s_waitcnt lgkmcnt(0)
	v_mul_lo_u32 v2, s1, v5
	v_mul_lo_u32 v11, s0, v6
	v_mad_u64_u32 v[7:8], s[0:1], s0, v5, 0
	v_mul_lo_u32 v12, s3, v0
	v_mul_lo_u32 v13, s2, v1
	v_mad_u64_u32 v[9:10], s[0:1], s2, v0, 0
	s_load_dwordx2 s[0:1], s[4:5], 0x0
	v_add3_u32 v8, v8, v11, v2
	v_add3_u32 v10, v10, v13, v12
	v_lshlrev_b64 v[9:10], 3, v[9:10]
	v_lshlrev_b64 v[7:8], 3, v[7:8]
	s_waitcnt lgkmcnt(0)
	v_mov_b32_e32 v2, s1
	v_add_co_u32_e32 v9, vcc, s0, v9
	v_addc_co_u32_e32 v2, vcc, v2, v10, vcc
	v_add_co_u32_e32 v9, vcc, v9, v7
	v_addc_co_u32_e32 v2, vcc, v2, v8, vcc
	v_lshlrev_b64 v[7:8], 3, v[3:4]
	v_add_co_u32_e32 v7, vcc, v9, v7
	v_addc_co_u32_e32 v8, vcc, v2, v8, vcc
	global_load_dwordx2 v[9:10], v[7:8], off
	s_load_dwordx2 s[0:1], s[4:5], 0x80
	s_load_dwordx2 s[6:7], s[4:5], 0x68
	s_waitcnt lgkmcnt(0)
	v_mul_lo_u32 v11, s1, v3
	v_mul_lo_u32 v4, s0, v4
	v_mad_u64_u32 v[2:3], s[0:1], s0, v3, 0
	s_load_dwordx4 s[0:3], s[4:5], 0xd0
	s_load_dwordx2 s[8:9], s[4:5], 0xb0
	v_mov_b32_e32 v13, s7
	v_add3_u32 v3, v3, v4, v11
	v_lshlrev_b64 v[2:3], 3, v[2:3]
	s_waitcnt lgkmcnt(0)
	v_mul_lo_u32 v14, s1, v5
	v_mul_lo_u32 v6, s0, v6
	v_mad_u64_u32 v[4:5], s[0:1], s0, v5, 0
	v_mul_lo_u32 v15, s3, v0
	v_mul_lo_u32 v16, s2, v1
	v_mad_u64_u32 v[11:12], s[0:1], s2, v0, 0
	v_add_co_u32_e32 v0, vcc, s6, v2
	v_add3_u32 v12, v12, v16, v15
	v_addc_co_u32_e32 v1, vcc, v13, v3, vcc
	v_lshlrev_b64 v[2:3], 3, v[11:12]
	v_add3_u32 v5, v5, v6, v14
	v_mov_b32_e32 v6, s9
	v_add_co_u32_e32 v11, vcc, s8, v2
	v_addc_co_u32_e32 v6, vcc, v6, v3, vcc
	v_lshlrev_b64 v[2:3], 3, v[4:5]
	v_add_co_u32_e32 v2, vcc, v11, v2
	v_addc_co_u32_e32 v3, vcc, v6, v3, vcc
.LBB0_2:                                ; =>This Inner Loop Header: Depth=1
	global_load_dwordx2 v[4:5], v[0:1], off
	global_load_dwordx2 v[11:12], v[2:3], off
	v_add_co_u32_e32 v0, vcc, 8, v0
	v_addc_co_u32_e32 v1, vcc, 0, v1, vcc
	s_add_u32 s12, s12, -1
	v_add_co_u32_e32 v2, vcc, 8, v2
	s_addc_u32 s13, s13, -1
	v_addc_co_u32_e32 v3, vcc, 0, v3, vcc
	s_cmp_lg_u64 s[12:13], 0
	s_waitcnt vmcnt(0)
	v_fma_f64 v[9:10], v[4:5], v[11:12], v[9:10]
	global_store_dwordx2 v[7:8], v[9:10], off
	s_cbranch_scc1 .LBB0_2
.LBB0_3:
	s_endpgm
	.section	.rodata,"a",@progbits
	.p2align	6, 0x0
	.amdhsa_kernel _ZN8rajaperf4apps6ltimesILm32ELm4ELm2EEEvN4RAJA8internal13TypedViewBaseIdPdNS2_6detail15LayoutBase_implIN4camp7int_seqIlJLl0ELl1ELl2EEEElLl2EEENS8_4listIJNS0_10ltimes_idx2IZENSD_2IGENSD_2IMEEEEEENS4_IdS5_NS7_INS9_IlJLl0ELl1EEEElLl1EEENSC_IJSG_NSD_2IDEEEEEENS4_IdS5_SB_NSC_IJSE_SF_SL_EEEEESL_SG_SF_SE_
		.amdhsa_group_segment_fixed_size 0
		.amdhsa_private_segment_fixed_size 0
		.amdhsa_kernarg_size 312
		.amdhsa_user_sgpr_count 6
		.amdhsa_user_sgpr_private_segment_buffer 1
		.amdhsa_user_sgpr_dispatch_ptr 0
		.amdhsa_user_sgpr_queue_ptr 0
		.amdhsa_user_sgpr_kernarg_segment_ptr 1
		.amdhsa_user_sgpr_dispatch_id 0
		.amdhsa_user_sgpr_flat_scratch_init 0
		.amdhsa_user_sgpr_private_segment_size 0
		.amdhsa_uses_dynamic_stack 0
		.amdhsa_system_sgpr_private_segment_wavefront_offset 0
		.amdhsa_system_sgpr_workgroup_id_x 1
		.amdhsa_system_sgpr_workgroup_id_y 1
		.amdhsa_system_sgpr_workgroup_id_z 1
		.amdhsa_system_sgpr_workgroup_info 0
		.amdhsa_system_vgpr_workitem_id 2
		.amdhsa_next_free_vgpr 17
		.amdhsa_next_free_sgpr 20
		.amdhsa_reserve_vcc 1
		.amdhsa_reserve_flat_scratch 0
		.amdhsa_float_round_mode_32 0
		.amdhsa_float_round_mode_16_64 0
		.amdhsa_float_denorm_mode_32 3
		.amdhsa_float_denorm_mode_16_64 3
		.amdhsa_dx10_clamp 1
		.amdhsa_ieee_mode 1
		.amdhsa_fp16_overflow 0
		.amdhsa_exception_fp_ieee_invalid_op 0
		.amdhsa_exception_fp_denorm_src 0
		.amdhsa_exception_fp_ieee_div_zero 0
		.amdhsa_exception_fp_ieee_overflow 0
		.amdhsa_exception_fp_ieee_underflow 0
		.amdhsa_exception_fp_ieee_inexact 0
		.amdhsa_exception_int_div_zero 0
	.end_amdhsa_kernel
	.section	.text._ZN8rajaperf4apps6ltimesILm32ELm4ELm2EEEvN4RAJA8internal13TypedViewBaseIdPdNS2_6detail15LayoutBase_implIN4camp7int_seqIlJLl0ELl1ELl2EEEElLl2EEENS8_4listIJNS0_10ltimes_idx2IZENSD_2IGENSD_2IMEEEEEENS4_IdS5_NS7_INS9_IlJLl0ELl1EEEElLl1EEENSC_IJSG_NSD_2IDEEEEEENS4_IdS5_SB_NSC_IJSE_SF_SL_EEEEESL_SG_SF_SE_,"axG",@progbits,_ZN8rajaperf4apps6ltimesILm32ELm4ELm2EEEvN4RAJA8internal13TypedViewBaseIdPdNS2_6detail15LayoutBase_implIN4camp7int_seqIlJLl0ELl1ELl2EEEElLl2EEENS8_4listIJNS0_10ltimes_idx2IZENSD_2IGENSD_2IMEEEEEENS4_IdS5_NS7_INS9_IlJLl0ELl1EEEElLl1EEENSC_IJSG_NSD_2IDEEEEEENS4_IdS5_SB_NSC_IJSE_SF_SL_EEEEESL_SG_SF_SE_,comdat
.Lfunc_end0:
	.size	_ZN8rajaperf4apps6ltimesILm32ELm4ELm2EEEvN4RAJA8internal13TypedViewBaseIdPdNS2_6detail15LayoutBase_implIN4camp7int_seqIlJLl0ELl1ELl2EEEElLl2EEENS8_4listIJNS0_10ltimes_idx2IZENSD_2IGENSD_2IMEEEEEENS4_IdS5_NS7_INS9_IlJLl0ELl1EEEElLl1EEENSC_IJSG_NSD_2IDEEEEEENS4_IdS5_SB_NSC_IJSE_SF_SL_EEEEESL_SG_SF_SE_, .Lfunc_end0-_ZN8rajaperf4apps6ltimesILm32ELm4ELm2EEEvN4RAJA8internal13TypedViewBaseIdPdNS2_6detail15LayoutBase_implIN4camp7int_seqIlJLl0ELl1ELl2EEEElLl2EEENS8_4listIJNS0_10ltimes_idx2IZENSD_2IGENSD_2IMEEEEEENS4_IdS5_NS7_INS9_IlJLl0ELl1EEEElLl1EEENSC_IJSG_NSD_2IDEEEEEENS4_IdS5_SB_NSC_IJSE_SF_SL_EEEEESL_SG_SF_SE_
                                        ; -- End function
	.set _ZN8rajaperf4apps6ltimesILm32ELm4ELm2EEEvN4RAJA8internal13TypedViewBaseIdPdNS2_6detail15LayoutBase_implIN4camp7int_seqIlJLl0ELl1ELl2EEEElLl2EEENS8_4listIJNS0_10ltimes_idx2IZENSD_2IGENSD_2IMEEEEEENS4_IdS5_NS7_INS9_IlJLl0ELl1EEEElLl1EEENSC_IJSG_NSD_2IDEEEEEENS4_IdS5_SB_NSC_IJSE_SF_SL_EEEEESL_SG_SF_SE_.num_vgpr, 17
	.set _ZN8rajaperf4apps6ltimesILm32ELm4ELm2EEEvN4RAJA8internal13TypedViewBaseIdPdNS2_6detail15LayoutBase_implIN4camp7int_seqIlJLl0ELl1ELl2EEEElLl2EEENS8_4listIJNS0_10ltimes_idx2IZENSD_2IGENSD_2IMEEEEEENS4_IdS5_NS7_INS9_IlJLl0ELl1EEEElLl1EEENSC_IJSG_NSD_2IDEEEEEENS4_IdS5_SB_NSC_IJSE_SF_SL_EEEEESL_SG_SF_SE_.num_agpr, 0
	.set _ZN8rajaperf4apps6ltimesILm32ELm4ELm2EEEvN4RAJA8internal13TypedViewBaseIdPdNS2_6detail15LayoutBase_implIN4camp7int_seqIlJLl0ELl1ELl2EEEElLl2EEENS8_4listIJNS0_10ltimes_idx2IZENSD_2IGENSD_2IMEEEEEENS4_IdS5_NS7_INS9_IlJLl0ELl1EEEElLl1EEENSC_IJSG_NSD_2IDEEEEEENS4_IdS5_SB_NSC_IJSE_SF_SL_EEEEESL_SG_SF_SE_.numbered_sgpr, 20
	.set _ZN8rajaperf4apps6ltimesILm32ELm4ELm2EEEvN4RAJA8internal13TypedViewBaseIdPdNS2_6detail15LayoutBase_implIN4camp7int_seqIlJLl0ELl1ELl2EEEElLl2EEENS8_4listIJNS0_10ltimes_idx2IZENSD_2IGENSD_2IMEEEEEENS4_IdS5_NS7_INS9_IlJLl0ELl1EEEElLl1EEENSC_IJSG_NSD_2IDEEEEEENS4_IdS5_SB_NSC_IJSE_SF_SL_EEEEESL_SG_SF_SE_.num_named_barrier, 0
	.set _ZN8rajaperf4apps6ltimesILm32ELm4ELm2EEEvN4RAJA8internal13TypedViewBaseIdPdNS2_6detail15LayoutBase_implIN4camp7int_seqIlJLl0ELl1ELl2EEEElLl2EEENS8_4listIJNS0_10ltimes_idx2IZENSD_2IGENSD_2IMEEEEEENS4_IdS5_NS7_INS9_IlJLl0ELl1EEEElLl1EEENSC_IJSG_NSD_2IDEEEEEENS4_IdS5_SB_NSC_IJSE_SF_SL_EEEEESL_SG_SF_SE_.private_seg_size, 0
	.set _ZN8rajaperf4apps6ltimesILm32ELm4ELm2EEEvN4RAJA8internal13TypedViewBaseIdPdNS2_6detail15LayoutBase_implIN4camp7int_seqIlJLl0ELl1ELl2EEEElLl2EEENS8_4listIJNS0_10ltimes_idx2IZENSD_2IGENSD_2IMEEEEEENS4_IdS5_NS7_INS9_IlJLl0ELl1EEEElLl1EEENSC_IJSG_NSD_2IDEEEEEENS4_IdS5_SB_NSC_IJSE_SF_SL_EEEEESL_SG_SF_SE_.uses_vcc, 1
	.set _ZN8rajaperf4apps6ltimesILm32ELm4ELm2EEEvN4RAJA8internal13TypedViewBaseIdPdNS2_6detail15LayoutBase_implIN4camp7int_seqIlJLl0ELl1ELl2EEEElLl2EEENS8_4listIJNS0_10ltimes_idx2IZENSD_2IGENSD_2IMEEEEEENS4_IdS5_NS7_INS9_IlJLl0ELl1EEEElLl1EEENSC_IJSG_NSD_2IDEEEEEENS4_IdS5_SB_NSC_IJSE_SF_SL_EEEEESL_SG_SF_SE_.uses_flat_scratch, 0
	.set _ZN8rajaperf4apps6ltimesILm32ELm4ELm2EEEvN4RAJA8internal13TypedViewBaseIdPdNS2_6detail15LayoutBase_implIN4camp7int_seqIlJLl0ELl1ELl2EEEElLl2EEENS8_4listIJNS0_10ltimes_idx2IZENSD_2IGENSD_2IMEEEEEENS4_IdS5_NS7_INS9_IlJLl0ELl1EEEElLl1EEENSC_IJSG_NSD_2IDEEEEEENS4_IdS5_SB_NSC_IJSE_SF_SL_EEEEESL_SG_SF_SE_.has_dyn_sized_stack, 0
	.set _ZN8rajaperf4apps6ltimesILm32ELm4ELm2EEEvN4RAJA8internal13TypedViewBaseIdPdNS2_6detail15LayoutBase_implIN4camp7int_seqIlJLl0ELl1ELl2EEEElLl2EEENS8_4listIJNS0_10ltimes_idx2IZENSD_2IGENSD_2IMEEEEEENS4_IdS5_NS7_INS9_IlJLl0ELl1EEEElLl1EEENSC_IJSG_NSD_2IDEEEEEENS4_IdS5_SB_NSC_IJSE_SF_SL_EEEEESL_SG_SF_SE_.has_recursion, 0
	.set _ZN8rajaperf4apps6ltimesILm32ELm4ELm2EEEvN4RAJA8internal13TypedViewBaseIdPdNS2_6detail15LayoutBase_implIN4camp7int_seqIlJLl0ELl1ELl2EEEElLl2EEENS8_4listIJNS0_10ltimes_idx2IZENSD_2IGENSD_2IMEEEEEENS4_IdS5_NS7_INS9_IlJLl0ELl1EEEElLl1EEENSC_IJSG_NSD_2IDEEEEEENS4_IdS5_SB_NSC_IJSE_SF_SL_EEEEESL_SG_SF_SE_.has_indirect_call, 0
	.section	.AMDGPU.csdata,"",@progbits
; Kernel info:
; codeLenInByte = 540
; TotalNumSgprs: 24
; NumVgprs: 17
; ScratchSize: 0
; MemoryBound: 0
; FloatMode: 240
; IeeeMode: 1
; LDSByteSize: 0 bytes/workgroup (compile time only)
; SGPRBlocks: 2
; VGPRBlocks: 4
; NumSGPRsForWavesPerEU: 24
; NumVGPRsForWavesPerEU: 17
; Occupancy: 10
; WaveLimiterHint : 1
; COMPUTE_PGM_RSRC2:SCRATCH_EN: 0
; COMPUTE_PGM_RSRC2:USER_SGPR: 6
; COMPUTE_PGM_RSRC2:TRAP_HANDLER: 0
; COMPUTE_PGM_RSRC2:TGID_X_EN: 1
; COMPUTE_PGM_RSRC2:TGID_Y_EN: 1
; COMPUTE_PGM_RSRC2:TGID_Z_EN: 1
; COMPUTE_PGM_RSRC2:TIDIG_COMP_CNT: 2
	.section	.text._ZN8rajaperf4apps10ltimes_lamILm32ELm4ELm2EZNS0_6LTIMES17runHipVariantImplILm256ELm0EEEvNS_9VariantIDEEUlNS0_10ltimes_idx2IZENS5_2IGENS5_2IMEE_EEvS8_S7_S6_T2_,"axG",@progbits,_ZN8rajaperf4apps10ltimes_lamILm32ELm4ELm2EZNS0_6LTIMES17runHipVariantImplILm256ELm0EEEvNS_9VariantIDEEUlNS0_10ltimes_idx2IZENS5_2IGENS5_2IMEE_EEvS8_S7_S6_T2_,comdat
	.protected	_ZN8rajaperf4apps10ltimes_lamILm32ELm4ELm2EZNS0_6LTIMES17runHipVariantImplILm256ELm0EEEvNS_9VariantIDEEUlNS0_10ltimes_idx2IZENS5_2IGENS5_2IMEE_EEvS8_S7_S6_T2_ ; -- Begin function _ZN8rajaperf4apps10ltimes_lamILm32ELm4ELm2EZNS0_6LTIMES17runHipVariantImplILm256ELm0EEEvNS_9VariantIDEEUlNS0_10ltimes_idx2IZENS5_2IGENS5_2IMEE_EEvS8_S7_S6_T2_
	.globl	_ZN8rajaperf4apps10ltimes_lamILm32ELm4ELm2EZNS0_6LTIMES17runHipVariantImplILm256ELm0EEEvNS_9VariantIDEEUlNS0_10ltimes_idx2IZENS5_2IGENS5_2IMEE_EEvS8_S7_S6_T2_
	.p2align	8
	.type	_ZN8rajaperf4apps10ltimes_lamILm32ELm4ELm2EZNS0_6LTIMES17runHipVariantImplILm256ELm0EEEvNS_9VariantIDEEUlNS0_10ltimes_idx2IZENS5_2IGENS5_2IMEE_EEvS8_S7_S6_T2_,@function
_ZN8rajaperf4apps10ltimes_lamILm32ELm4ELm2EZNS0_6LTIMES17runHipVariantImplILm256ELm0EEEvNS_9VariantIDEEUlNS0_10ltimes_idx2IZENS5_2IGENS5_2IMEE_EEvS8_S7_S6_T2_: ; @_ZN8rajaperf4apps10ltimes_lamILm32ELm4ELm2EZNS0_6LTIMES17runHipVariantImplILm256ELm0EEEvNS_9VariantIDEEUlNS0_10ltimes_idx2IZENS5_2IGENS5_2IMEE_EEvS8_S7_S6_T2_
; %bb.0:
	s_mov_b32 s0, s7
	s_mov_b32 s7, 0
	s_load_dwordx8 s[12:19], s[4:5], 0x0
	s_lshl_b64 s[2:3], s[6:7], 5
	v_mov_b32_e32 v4, s3
	v_add_co_u32_e32 v3, vcc, s2, v0
	s_mov_b32 s1, s7
	v_addc_co_u32_e32 v4, vcc, 0, v4, vcc
	s_lshl_b64 s[0:1], s[0:1], 2
	v_mov_b32_e32 v5, s1
	v_add_co_u32_e32 v0, vcc, s0, v1
	s_mov_b32 s9, s7
	v_addc_co_u32_e32 v1, vcc, 0, v5, vcc
	s_lshl_b64 s[2:3], s[8:9], 1
	v_mov_b32_e32 v6, s3
	s_waitcnt lgkmcnt(0)
	v_cmp_gt_i64_e32 vcc, s[12:13], v[3:4]
	v_cmp_gt_i64_e64 s[0:1], s[14:15], v[0:1]
	v_add_co_u32_e64 v5, s[2:3], s2, v2
	v_addc_co_u32_e64 v6, s[2:3], 0, v6, s[2:3]
	s_and_b64 s[0:1], vcc, s[0:1]
	v_cmp_gt_i64_e32 vcc, s[16:17], v[5:6]
	v_cmp_gt_i64_e64 s[2:3], s[18:19], 0
	s_and_b64 s[0:1], s[0:1], vcc
	s_and_b64 s[0:1], s[0:1], s[2:3]
	s_and_saveexec_b64 s[2:3], s[0:1]
	s_cbranch_execz .LBB1_3
; %bb.1:
	s_load_dwordx4 s[0:3], s[4:5], 0x40
	s_waitcnt lgkmcnt(0)
	v_mul_lo_u32 v2, s1, v5
	v_mul_lo_u32 v11, s0, v6
	v_mad_u64_u32 v[7:8], s[0:1], s0, v5, 0
	v_mul_lo_u32 v12, s3, v0
	v_mul_lo_u32 v13, s2, v1
	v_mad_u64_u32 v[9:10], s[0:1], s2, v0, 0
	s_load_dwordx2 s[0:1], s[4:5], 0x20
	v_add3_u32 v8, v8, v11, v2
	v_add3_u32 v10, v10, v13, v12
	v_lshlrev_b64 v[9:10], 3, v[9:10]
	v_lshlrev_b64 v[7:8], 3, v[7:8]
	s_waitcnt lgkmcnt(0)
	v_mov_b32_e32 v2, s1
	v_add_co_u32_e32 v9, vcc, s0, v9
	v_addc_co_u32_e32 v2, vcc, v2, v10, vcc
	v_add_co_u32_e32 v9, vcc, v9, v7
	v_addc_co_u32_e32 v2, vcc, v2, v8, vcc
	v_lshlrev_b64 v[7:8], 3, v[3:4]
	v_add_co_u32_e32 v7, vcc, v9, v7
	v_addc_co_u32_e32 v8, vcc, v2, v8, vcc
	global_load_dwordx2 v[9:10], v[7:8], off
	s_load_dwordx2 s[0:1], s[4:5], 0xa0
	s_load_dwordx2 s[6:7], s[4:5], 0x88
	s_waitcnt lgkmcnt(0)
	v_mul_lo_u32 v11, s1, v3
	v_mul_lo_u32 v4, s0, v4
	v_mad_u64_u32 v[2:3], s[0:1], s0, v3, 0
	s_load_dwordx4 s[0:3], s[4:5], 0xf0
	s_load_dwordx2 s[8:9], s[4:5], 0xd0
	v_mov_b32_e32 v13, s7
	v_add3_u32 v3, v3, v4, v11
	v_lshlrev_b64 v[2:3], 3, v[2:3]
	s_waitcnt lgkmcnt(0)
	v_mul_lo_u32 v14, s1, v5
	v_mul_lo_u32 v6, s0, v6
	v_mad_u64_u32 v[4:5], s[0:1], s0, v5, 0
	v_mul_lo_u32 v15, s3, v0
	v_mul_lo_u32 v16, s2, v1
	v_mad_u64_u32 v[11:12], s[0:1], s2, v0, 0
	v_add_co_u32_e32 v0, vcc, s6, v2
	v_add3_u32 v12, v12, v16, v15
	v_addc_co_u32_e32 v1, vcc, v13, v3, vcc
	v_lshlrev_b64 v[2:3], 3, v[11:12]
	v_add3_u32 v5, v5, v6, v14
	v_mov_b32_e32 v6, s9
	v_add_co_u32_e32 v11, vcc, s8, v2
	v_addc_co_u32_e32 v6, vcc, v6, v3, vcc
	v_lshlrev_b64 v[2:3], 3, v[4:5]
	v_add_co_u32_e32 v2, vcc, v11, v2
	v_addc_co_u32_e32 v3, vcc, v6, v3, vcc
.LBB1_2:                                ; =>This Inner Loop Header: Depth=1
	global_load_dwordx2 v[4:5], v[0:1], off
	global_load_dwordx2 v[11:12], v[2:3], off
	v_add_co_u32_e32 v0, vcc, 8, v0
	v_addc_co_u32_e32 v1, vcc, 0, v1, vcc
	s_add_u32 s18, s18, -1
	v_add_co_u32_e32 v2, vcc, 8, v2
	s_addc_u32 s19, s19, -1
	v_addc_co_u32_e32 v3, vcc, 0, v3, vcc
	s_cmp_lg_u64 s[18:19], 0
	s_waitcnt vmcnt(0)
	v_fma_f64 v[9:10], v[4:5], v[11:12], v[9:10]
	global_store_dwordx2 v[7:8], v[9:10], off
	s_cbranch_scc1 .LBB1_2
.LBB1_3:
	s_endpgm
	.section	.rodata,"a",@progbits
	.p2align	6, 0x0
	.amdhsa_kernel _ZN8rajaperf4apps10ltimes_lamILm32ELm4ELm2EZNS0_6LTIMES17runHipVariantImplILm256ELm0EEEvNS_9VariantIDEEUlNS0_10ltimes_idx2IZENS5_2IGENS5_2IMEE_EEvS8_S7_S6_T2_
		.amdhsa_group_segment_fixed_size 0
		.amdhsa_private_segment_fixed_size 0
		.amdhsa_kernarg_size 312
		.amdhsa_user_sgpr_count 6
		.amdhsa_user_sgpr_private_segment_buffer 1
		.amdhsa_user_sgpr_dispatch_ptr 0
		.amdhsa_user_sgpr_queue_ptr 0
		.amdhsa_user_sgpr_kernarg_segment_ptr 1
		.amdhsa_user_sgpr_dispatch_id 0
		.amdhsa_user_sgpr_flat_scratch_init 0
		.amdhsa_user_sgpr_private_segment_size 0
		.amdhsa_uses_dynamic_stack 0
		.amdhsa_system_sgpr_private_segment_wavefront_offset 0
		.amdhsa_system_sgpr_workgroup_id_x 1
		.amdhsa_system_sgpr_workgroup_id_y 1
		.amdhsa_system_sgpr_workgroup_id_z 1
		.amdhsa_system_sgpr_workgroup_info 0
		.amdhsa_system_vgpr_workitem_id 2
		.amdhsa_next_free_vgpr 17
		.amdhsa_next_free_sgpr 20
		.amdhsa_reserve_vcc 1
		.amdhsa_reserve_flat_scratch 0
		.amdhsa_float_round_mode_32 0
		.amdhsa_float_round_mode_16_64 0
		.amdhsa_float_denorm_mode_32 3
		.amdhsa_float_denorm_mode_16_64 3
		.amdhsa_dx10_clamp 1
		.amdhsa_ieee_mode 1
		.amdhsa_fp16_overflow 0
		.amdhsa_exception_fp_ieee_invalid_op 0
		.amdhsa_exception_fp_denorm_src 0
		.amdhsa_exception_fp_ieee_div_zero 0
		.amdhsa_exception_fp_ieee_overflow 0
		.amdhsa_exception_fp_ieee_underflow 0
		.amdhsa_exception_fp_ieee_inexact 0
		.amdhsa_exception_int_div_zero 0
	.end_amdhsa_kernel
	.section	.text._ZN8rajaperf4apps10ltimes_lamILm32ELm4ELm2EZNS0_6LTIMES17runHipVariantImplILm256ELm0EEEvNS_9VariantIDEEUlNS0_10ltimes_idx2IZENS5_2IGENS5_2IMEE_EEvS8_S7_S6_T2_,"axG",@progbits,_ZN8rajaperf4apps10ltimes_lamILm32ELm4ELm2EZNS0_6LTIMES17runHipVariantImplILm256ELm0EEEvNS_9VariantIDEEUlNS0_10ltimes_idx2IZENS5_2IGENS5_2IMEE_EEvS8_S7_S6_T2_,comdat
.Lfunc_end1:
	.size	_ZN8rajaperf4apps10ltimes_lamILm32ELm4ELm2EZNS0_6LTIMES17runHipVariantImplILm256ELm0EEEvNS_9VariantIDEEUlNS0_10ltimes_idx2IZENS5_2IGENS5_2IMEE_EEvS8_S7_S6_T2_, .Lfunc_end1-_ZN8rajaperf4apps10ltimes_lamILm32ELm4ELm2EZNS0_6LTIMES17runHipVariantImplILm256ELm0EEEvNS_9VariantIDEEUlNS0_10ltimes_idx2IZENS5_2IGENS5_2IMEE_EEvS8_S7_S6_T2_
                                        ; -- End function
	.set _ZN8rajaperf4apps10ltimes_lamILm32ELm4ELm2EZNS0_6LTIMES17runHipVariantImplILm256ELm0EEEvNS_9VariantIDEEUlNS0_10ltimes_idx2IZENS5_2IGENS5_2IMEE_EEvS8_S7_S6_T2_.num_vgpr, 17
	.set _ZN8rajaperf4apps10ltimes_lamILm32ELm4ELm2EZNS0_6LTIMES17runHipVariantImplILm256ELm0EEEvNS_9VariantIDEEUlNS0_10ltimes_idx2IZENS5_2IGENS5_2IMEE_EEvS8_S7_S6_T2_.num_agpr, 0
	.set _ZN8rajaperf4apps10ltimes_lamILm32ELm4ELm2EZNS0_6LTIMES17runHipVariantImplILm256ELm0EEEvNS_9VariantIDEEUlNS0_10ltimes_idx2IZENS5_2IGENS5_2IMEE_EEvS8_S7_S6_T2_.numbered_sgpr, 20
	.set _ZN8rajaperf4apps10ltimes_lamILm32ELm4ELm2EZNS0_6LTIMES17runHipVariantImplILm256ELm0EEEvNS_9VariantIDEEUlNS0_10ltimes_idx2IZENS5_2IGENS5_2IMEE_EEvS8_S7_S6_T2_.num_named_barrier, 0
	.set _ZN8rajaperf4apps10ltimes_lamILm32ELm4ELm2EZNS0_6LTIMES17runHipVariantImplILm256ELm0EEEvNS_9VariantIDEEUlNS0_10ltimes_idx2IZENS5_2IGENS5_2IMEE_EEvS8_S7_S6_T2_.private_seg_size, 0
	.set _ZN8rajaperf4apps10ltimes_lamILm32ELm4ELm2EZNS0_6LTIMES17runHipVariantImplILm256ELm0EEEvNS_9VariantIDEEUlNS0_10ltimes_idx2IZENS5_2IGENS5_2IMEE_EEvS8_S7_S6_T2_.uses_vcc, 1
	.set _ZN8rajaperf4apps10ltimes_lamILm32ELm4ELm2EZNS0_6LTIMES17runHipVariantImplILm256ELm0EEEvNS_9VariantIDEEUlNS0_10ltimes_idx2IZENS5_2IGENS5_2IMEE_EEvS8_S7_S6_T2_.uses_flat_scratch, 0
	.set _ZN8rajaperf4apps10ltimes_lamILm32ELm4ELm2EZNS0_6LTIMES17runHipVariantImplILm256ELm0EEEvNS_9VariantIDEEUlNS0_10ltimes_idx2IZENS5_2IGENS5_2IMEE_EEvS8_S7_S6_T2_.has_dyn_sized_stack, 0
	.set _ZN8rajaperf4apps10ltimes_lamILm32ELm4ELm2EZNS0_6LTIMES17runHipVariantImplILm256ELm0EEEvNS_9VariantIDEEUlNS0_10ltimes_idx2IZENS5_2IGENS5_2IMEE_EEvS8_S7_S6_T2_.has_recursion, 0
	.set _ZN8rajaperf4apps10ltimes_lamILm32ELm4ELm2EZNS0_6LTIMES17runHipVariantImplILm256ELm0EEEvNS_9VariantIDEEUlNS0_10ltimes_idx2IZENS5_2IGENS5_2IMEE_EEvS8_S7_S6_T2_.has_indirect_call, 0
	.section	.AMDGPU.csdata,"",@progbits
; Kernel info:
; codeLenInByte = 540
; TotalNumSgprs: 24
; NumVgprs: 17
; ScratchSize: 0
; MemoryBound: 0
; FloatMode: 240
; IeeeMode: 1
; LDSByteSize: 0 bytes/workgroup (compile time only)
; SGPRBlocks: 2
; VGPRBlocks: 4
; NumSGPRsForWavesPerEU: 24
; NumVGPRsForWavesPerEU: 17
; Occupancy: 10
; WaveLimiterHint : 1
; COMPUTE_PGM_RSRC2:SCRATCH_EN: 0
; COMPUTE_PGM_RSRC2:USER_SGPR: 6
; COMPUTE_PGM_RSRC2:TRAP_HANDLER: 0
; COMPUTE_PGM_RSRC2:TGID_X_EN: 1
; COMPUTE_PGM_RSRC2:TGID_Y_EN: 1
; COMPUTE_PGM_RSRC2:TGID_Z_EN: 1
; COMPUTE_PGM_RSRC2:TIDIG_COMP_CNT: 2
	.section	.text._ZN4RAJA8internal22HipKernelLauncherFixedILi256ENS0_8LoopDataIN4camp5tupleIJNS_4SpanINS_9Iterators16numeric_iteratorIN8rajaperf4apps10ltimes_idx2IDElPSB_EElEENS5_INS7_INSA_2IZElPSF_EElEENS5_INS7_INSA_2IGElPSJ_EElEENS5_INS7_INSA_2IMElPSN_EElEEEEENS4_IJEEENS3_9resources2v13HipEJZNS9_6LTIMES17runHipVariantImplILm256ELm0EEEvNS8_9VariantIDEEUlSB_SF_SJ_SN_E_EEENS0_24HipStatementListExecutorIS10_NS3_4listIJNS_9statement3ForILl1ENS_6policy3hip11hip_indexerINS_17iteration_mapping6DirectELNS_23kernel_sync_requirementE0EJNS_3hip11IndexGlobalILNS_9named_dimE2ELi2ELi0EEEEEEJNS14_ILl2ENS17_IS19_LS1A_0EJNS1C_ILS1D_1ELi4ELi0EEEEEEJNS14_ILl3ENS17_IS19_LS1A_0EJNS1C_ILS1D_0ELi32ELi0EEEEEEJNS14_ILl0ENS15_10sequential8seq_execEJNS13_6LambdaILl0EJEEEEEEEEEEEEEEEEEENS0_9LoopTypesINS12_IJvvvvEEES1U_EEEEEEvT0_,"axG",@progbits,_ZN4RAJA8internal22HipKernelLauncherFixedILi256ENS0_8LoopDataIN4camp5tupleIJNS_4SpanINS_9Iterators16numeric_iteratorIN8rajaperf4apps10ltimes_idx2IDElPSB_EElEENS5_INS7_INSA_2IZElPSF_EElEENS5_INS7_INSA_2IGElPSJ_EElEENS5_INS7_INSA_2IMElPSN_EElEEEEENS4_IJEEENS3_9resources2v13HipEJZNS9_6LTIMES17runHipVariantImplILm256ELm0EEEvNS8_9VariantIDEEUlSB_SF_SJ_SN_E_EEENS0_24HipStatementListExecutorIS10_NS3_4listIJNS_9statement3ForILl1ENS_6policy3hip11hip_indexerINS_17iteration_mapping6DirectELNS_23kernel_sync_requirementE0EJNS_3hip11IndexGlobalILNS_9named_dimE2ELi2ELi0EEEEEEJNS14_ILl2ENS17_IS19_LS1A_0EJNS1C_ILS1D_1ELi4ELi0EEEEEEJNS14_ILl3ENS17_IS19_LS1A_0EJNS1C_ILS1D_0ELi32ELi0EEEEEEJNS14_ILl0ENS15_10sequential8seq_execEJNS13_6LambdaILl0EJEEEEEEEEEEEEEEEEEENS0_9LoopTypesINS12_IJvvvvEEES1U_EEEEEEvT0_,comdat
	.protected	_ZN4RAJA8internal22HipKernelLauncherFixedILi256ENS0_8LoopDataIN4camp5tupleIJNS_4SpanINS_9Iterators16numeric_iteratorIN8rajaperf4apps10ltimes_idx2IDElPSB_EElEENS5_INS7_INSA_2IZElPSF_EElEENS5_INS7_INSA_2IGElPSJ_EElEENS5_INS7_INSA_2IMElPSN_EElEEEEENS4_IJEEENS3_9resources2v13HipEJZNS9_6LTIMES17runHipVariantImplILm256ELm0EEEvNS8_9VariantIDEEUlSB_SF_SJ_SN_E_EEENS0_24HipStatementListExecutorIS10_NS3_4listIJNS_9statement3ForILl1ENS_6policy3hip11hip_indexerINS_17iteration_mapping6DirectELNS_23kernel_sync_requirementE0EJNS_3hip11IndexGlobalILNS_9named_dimE2ELi2ELi0EEEEEEJNS14_ILl2ENS17_IS19_LS1A_0EJNS1C_ILS1D_1ELi4ELi0EEEEEEJNS14_ILl3ENS17_IS19_LS1A_0EJNS1C_ILS1D_0ELi32ELi0EEEEEEJNS14_ILl0ENS15_10sequential8seq_execEJNS13_6LambdaILl0EJEEEEEEEEEEEEEEEEEENS0_9LoopTypesINS12_IJvvvvEEES1U_EEEEEEvT0_ ; -- Begin function _ZN4RAJA8internal22HipKernelLauncherFixedILi256ENS0_8LoopDataIN4camp5tupleIJNS_4SpanINS_9Iterators16numeric_iteratorIN8rajaperf4apps10ltimes_idx2IDElPSB_EElEENS5_INS7_INSA_2IZElPSF_EElEENS5_INS7_INSA_2IGElPSJ_EElEENS5_INS7_INSA_2IMElPSN_EElEEEEENS4_IJEEENS3_9resources2v13HipEJZNS9_6LTIMES17runHipVariantImplILm256ELm0EEEvNS8_9VariantIDEEUlSB_SF_SJ_SN_E_EEENS0_24HipStatementListExecutorIS10_NS3_4listIJNS_9statement3ForILl1ENS_6policy3hip11hip_indexerINS_17iteration_mapping6DirectELNS_23kernel_sync_requirementE0EJNS_3hip11IndexGlobalILNS_9named_dimE2ELi2ELi0EEEEEEJNS14_ILl2ENS17_IS19_LS1A_0EJNS1C_ILS1D_1ELi4ELi0EEEEEEJNS14_ILl3ENS17_IS19_LS1A_0EJNS1C_ILS1D_0ELi32ELi0EEEEEEJNS14_ILl0ENS15_10sequential8seq_execEJNS13_6LambdaILl0EJEEEEEEEEEEEEEEEEEENS0_9LoopTypesINS12_IJvvvvEEES1U_EEEEEEvT0_
	.globl	_ZN4RAJA8internal22HipKernelLauncherFixedILi256ENS0_8LoopDataIN4camp5tupleIJNS_4SpanINS_9Iterators16numeric_iteratorIN8rajaperf4apps10ltimes_idx2IDElPSB_EElEENS5_INS7_INSA_2IZElPSF_EElEENS5_INS7_INSA_2IGElPSJ_EElEENS5_INS7_INSA_2IMElPSN_EElEEEEENS4_IJEEENS3_9resources2v13HipEJZNS9_6LTIMES17runHipVariantImplILm256ELm0EEEvNS8_9VariantIDEEUlSB_SF_SJ_SN_E_EEENS0_24HipStatementListExecutorIS10_NS3_4listIJNS_9statement3ForILl1ENS_6policy3hip11hip_indexerINS_17iteration_mapping6DirectELNS_23kernel_sync_requirementE0EJNS_3hip11IndexGlobalILNS_9named_dimE2ELi2ELi0EEEEEEJNS14_ILl2ENS17_IS19_LS1A_0EJNS1C_ILS1D_1ELi4ELi0EEEEEEJNS14_ILl3ENS17_IS19_LS1A_0EJNS1C_ILS1D_0ELi32ELi0EEEEEEJNS14_ILl0ENS15_10sequential8seq_execEJNS13_6LambdaILl0EJEEEEEEEEEEEEEEEEEENS0_9LoopTypesINS12_IJvvvvEEES1U_EEEEEEvT0_
	.p2align	8
	.type	_ZN4RAJA8internal22HipKernelLauncherFixedILi256ENS0_8LoopDataIN4camp5tupleIJNS_4SpanINS_9Iterators16numeric_iteratorIN8rajaperf4apps10ltimes_idx2IDElPSB_EElEENS5_INS7_INSA_2IZElPSF_EElEENS5_INS7_INSA_2IGElPSJ_EElEENS5_INS7_INSA_2IMElPSN_EElEEEEENS4_IJEEENS3_9resources2v13HipEJZNS9_6LTIMES17runHipVariantImplILm256ELm0EEEvNS8_9VariantIDEEUlSB_SF_SJ_SN_E_EEENS0_24HipStatementListExecutorIS10_NS3_4listIJNS_9statement3ForILl1ENS_6policy3hip11hip_indexerINS_17iteration_mapping6DirectELNS_23kernel_sync_requirementE0EJNS_3hip11IndexGlobalILNS_9named_dimE2ELi2ELi0EEEEEEJNS14_ILl2ENS17_IS19_LS1A_0EJNS1C_ILS1D_1ELi4ELi0EEEEEEJNS14_ILl3ENS17_IS19_LS1A_0EJNS1C_ILS1D_0ELi32ELi0EEEEEEJNS14_ILl0ENS15_10sequential8seq_execEJNS13_6LambdaILl0EJEEEEEEEEEEEEEEEEEENS0_9LoopTypesINS12_IJvvvvEEES1U_EEEEEEvT0_,@function
_ZN4RAJA8internal22HipKernelLauncherFixedILi256ENS0_8LoopDataIN4camp5tupleIJNS_4SpanINS_9Iterators16numeric_iteratorIN8rajaperf4apps10ltimes_idx2IDElPSB_EElEENS5_INS7_INSA_2IZElPSF_EElEENS5_INS7_INSA_2IGElPSJ_EElEENS5_INS7_INSA_2IMElPSN_EElEEEEENS4_IJEEENS3_9resources2v13HipEJZNS9_6LTIMES17runHipVariantImplILm256ELm0EEEvNS8_9VariantIDEEUlSB_SF_SJ_SN_E_EEENS0_24HipStatementListExecutorIS10_NS3_4listIJNS_9statement3ForILl1ENS_6policy3hip11hip_indexerINS_17iteration_mapping6DirectELNS_23kernel_sync_requirementE0EJNS_3hip11IndexGlobalILNS_9named_dimE2ELi2ELi0EEEEEEJNS14_ILl2ENS17_IS19_LS1A_0EJNS1C_ILS1D_1ELi4ELi0EEEEEEJNS14_ILl3ENS17_IS19_LS1A_0EJNS1C_ILS1D_0ELi32ELi0EEEEEEJNS14_ILl0ENS15_10sequential8seq_execEJNS13_6LambdaILl0EJEEEEEEEEEEEEEEEEEENS0_9LoopTypesINS12_IJvvvvEEES1U_EEEEEEvT0_: ; @_ZN4RAJA8internal22HipKernelLauncherFixedILi256ENS0_8LoopDataIN4camp5tupleIJNS_4SpanINS_9Iterators16numeric_iteratorIN8rajaperf4apps10ltimes_idx2IDElPSB_EElEENS5_INS7_INSA_2IZElPSF_EElEENS5_INS7_INSA_2IGElPSJ_EElEENS5_INS7_INSA_2IMElPSN_EElEEEEENS4_IJEEENS3_9resources2v13HipEJZNS9_6LTIMES17runHipVariantImplILm256ELm0EEEvNS8_9VariantIDEEUlSB_SF_SJ_SN_E_EEENS0_24HipStatementListExecutorIS10_NS3_4listIJNS_9statement3ForILl1ENS_6policy3hip11hip_indexerINS_17iteration_mapping6DirectELNS_23kernel_sync_requirementE0EJNS_3hip11IndexGlobalILNS_9named_dimE2ELi2ELi0EEEEEEJNS14_ILl2ENS17_IS19_LS1A_0EJNS1C_ILS1D_1ELi4ELi0EEEEEEJNS14_ILl3ENS17_IS19_LS1A_0EJNS1C_ILS1D_0ELi32ELi0EEEEEEJNS14_ILl0ENS15_10sequential8seq_execEJNS13_6LambdaILl0EJEEEEEEEEEEEEEEEEEENS0_9LoopTypesINS12_IJvvvvEEES1U_EEEEEEvT0_
; %bb.0:
	s_load_dwordx16 s[12:27], s[4:5], 0x0
	s_waitcnt lgkmcnt(0)
	s_sub_u32 s10, s14, s12
	s_subb_u32 s11, s15, s13
	v_cmp_lt_i64_e64 s[2:3], s[10:11], 1
	s_and_b64 vcc, exec, s[2:3]
	s_cbranch_vccnz .LBB2_5
; %bb.1:
	s_sub_u32 s2, s18, s16
	s_mov_b32 s9, 0
	s_subb_u32 s3, s19, s17
	s_lshl_b64 s[14:15], s[8:9], 1
	v_mov_b32_e32 v3, s15
	v_add_co_u32_e32 v2, vcc, s14, v2
	v_addc_co_u32_e32 v3, vcc, 0, v3, vcc
	s_mov_b32 s0, s7
	v_cmp_gt_i64_e32 vcc, s[2:3], v[2:3]
	s_sub_u32 s2, s22, s20
	s_mov_b32 s1, s9
	s_subb_u32 s3, s23, s21
	s_lshl_b64 s[0:1], s[0:1], 2
	v_mov_b32_e32 v5, s1
	v_add_co_u32_e64 v4, s[0:1], s0, v1
	v_addc_co_u32_e64 v5, s[0:1], 0, v5, s[0:1]
	v_cmp_gt_i64_e64 s[0:1], s[2:3], v[4:5]
	s_mov_b32 s7, s9
	s_and_b64 s[0:1], vcc, s[0:1]
	s_sub_u32 s2, s26, s24
	s_subb_u32 s3, s27, s25
	s_lshl_b64 s[6:7], s[6:7], 5
	v_mov_b32_e32 v1, s7
	v_add_co_u32_e32 v0, vcc, s6, v0
	v_addc_co_u32_e32 v1, vcc, 0, v1, vcc
	v_cmp_gt_i64_e32 vcc, s[2:3], v[0:1]
	v_mov_b32_e32 v6, s17
	s_and_b64 s[6:7], s[0:1], vcc
	s_load_dwordx4 s[0:3], s[4:5], 0x128
	s_load_dwordx2 s[8:9], s[4:5], 0x108
	s_load_dwordx2 s[14:15], s[4:5], 0xd8
	;; [unrolled: 1-line block ×4, first 2 shown]
	s_load_dwordx4 s[28:31], s[4:5], 0x78
	v_add_co_u32_e32 v7, vcc, s16, v2
	v_addc_co_u32_e32 v6, vcc, v6, v3, vcc
	v_mov_b32_e32 v2, s21
	v_add_co_u32_e32 v8, vcc, s20, v4
	v_addc_co_u32_e32 v9, vcc, v2, v5, vcc
	s_waitcnt lgkmcnt(0)
	v_mul_lo_u32 v13, s31, v8
	v_mul_lo_u32 v14, s30, v9
	v_mad_u64_u32 v[4:5], s[4:5], s30, v8, 0
	v_mul_lo_u32 v11, s29, v7
	v_mul_lo_u32 v12, s28, v6
	v_mad_u64_u32 v[2:3], s[4:5], s28, v7, 0
	v_add3_u32 v5, v5, v14, v13
	v_mov_b32_e32 v10, s25
	v_add_co_u32_e32 v0, vcc, s24, v0
	v_lshlrev_b64 v[4:5], 3, v[4:5]
	v_addc_co_u32_e32 v1, vcc, v10, v1, vcc
	v_add3_u32 v3, v3, v12, v11
	v_mov_b32_e32 v10, s23
	v_add_co_u32_e32 v4, vcc, s22, v4
	v_lshlrev_b64 v[2:3], 3, v[2:3]
	v_addc_co_u32_e32 v5, vcc, v10, v5, vcc
	v_add_co_u32_e32 v10, vcc, v4, v2
	v_addc_co_u32_e32 v11, vcc, v5, v3, vcc
	v_mul_lo_u32 v12, s15, v0
	v_mul_lo_u32 v13, s14, v1
	v_mad_u64_u32 v[4:5], s[4:5], s14, v0, 0
	v_lshlrev_b64 v[2:3], 3, v[0:1]
	v_mul_lo_u32 v9, s2, v9
	v_add_co_u32_e32 v0, vcc, v10, v2
	v_add3_u32 v5, v5, v13, v12
	v_addc_co_u32_e32 v1, vcc, v11, v3, vcc
	v_lshlrev_b64 v[2:3], 3, v[4:5]
	v_mul_lo_u32 v11, s3, v8
	v_mad_u64_u32 v[4:5], s[2:3], s2, v8, 0
	v_mul_lo_u32 v8, s1, v7
	v_mul_lo_u32 v12, s0, v6
	v_mad_u64_u32 v[6:7], s[0:1], s0, v7, 0
	s_lshl_b64 s[4:5], s[12:13], 3
	s_add_u32 s12, s18, s4
	s_addc_u32 s13, s19, s5
	v_add3_u32 v5, v5, v9, v11
	v_add3_u32 v7, v7, v12, v8
	v_mov_b32_e32 v10, s13
	v_add_co_u32_e32 v2, vcc, s12, v2
	v_lshlrev_b64 v[4:5], 3, v[4:5]
	v_lshlrev_b64 v[6:7], 3, v[6:7]
	v_addc_co_u32_e32 v3, vcc, v10, v3, vcc
	v_add_co_u32_e32 v4, vcc, v4, v6
	s_add_u32 s0, s8, s4
	v_addc_co_u32_e32 v5, vcc, v5, v7, vcc
	s_addc_u32 s1, s9, s5
	v_mov_b32_e32 v6, s1
	v_add_co_u32_e32 v4, vcc, s0, v4
	v_addc_co_u32_e32 v5, vcc, v6, v5, vcc
	s_mov_b64 s[2:3], 0
	s_branch .LBB2_3
.LBB2_2:                                ;   in Loop: Header=BB2_3 Depth=1
	s_or_b64 exec, exec, s[0:1]
	s_add_u32 s2, s2, 1
	v_add_co_u32_e32 v2, vcc, 8, v2
	v_mov_b32_e32 v6, s10
	s_addc_u32 s3, s3, 0
	v_addc_co_u32_e32 v3, vcc, 0, v3, vcc
	v_mov_b32_e32 v7, s11
	v_cmp_lt_i64_e32 vcc, s[2:3], v[6:7]
	v_add_co_u32_e64 v4, s[0:1], 8, v4
	v_addc_co_u32_e64 v5, s[0:1], 0, v5, s[0:1]
	s_cbranch_vccz .LBB2_5
.LBB2_3:                                ; =>This Inner Loop Header: Depth=1
	s_and_saveexec_b64 s[0:1], s[6:7]
	s_cbranch_execz .LBB2_2
; %bb.4:                                ;   in Loop: Header=BB2_3 Depth=1
	global_load_dwordx2 v[6:7], v[2:3], off
	global_load_dwordx2 v[8:9], v[4:5], off
	;; [unrolled: 1-line block ×3, first 2 shown]
	s_waitcnt vmcnt(0)
	v_fma_f64 v[6:7], v[6:7], v[8:9], v[10:11]
	global_store_dwordx2 v[0:1], v[6:7], off
	s_branch .LBB2_2
.LBB2_5:
	s_endpgm
	.section	.rodata,"a",@progbits
	.p2align	6, 0x0
	.amdhsa_kernel _ZN4RAJA8internal22HipKernelLauncherFixedILi256ENS0_8LoopDataIN4camp5tupleIJNS_4SpanINS_9Iterators16numeric_iteratorIN8rajaperf4apps10ltimes_idx2IDElPSB_EElEENS5_INS7_INSA_2IZElPSF_EElEENS5_INS7_INSA_2IGElPSJ_EElEENS5_INS7_INSA_2IMElPSN_EElEEEEENS4_IJEEENS3_9resources2v13HipEJZNS9_6LTIMES17runHipVariantImplILm256ELm0EEEvNS8_9VariantIDEEUlSB_SF_SJ_SN_E_EEENS0_24HipStatementListExecutorIS10_NS3_4listIJNS_9statement3ForILl1ENS_6policy3hip11hip_indexerINS_17iteration_mapping6DirectELNS_23kernel_sync_requirementE0EJNS_3hip11IndexGlobalILNS_9named_dimE2ELi2ELi0EEEEEEJNS14_ILl2ENS17_IS19_LS1A_0EJNS1C_ILS1D_1ELi4ELi0EEEEEEJNS14_ILl3ENS17_IS19_LS1A_0EJNS1C_ILS1D_0ELi32ELi0EEEEEEJNS14_ILl0ENS15_10sequential8seq_execEJNS13_6LambdaILl0EJEEEEEEEEEEEEEEEEEENS0_9LoopTypesINS12_IJvvvvEEES1U_EEEEEEvT0_
		.amdhsa_group_segment_fixed_size 0
		.amdhsa_private_segment_fixed_size 0
		.amdhsa_kernarg_size 416
		.amdhsa_user_sgpr_count 6
		.amdhsa_user_sgpr_private_segment_buffer 1
		.amdhsa_user_sgpr_dispatch_ptr 0
		.amdhsa_user_sgpr_queue_ptr 0
		.amdhsa_user_sgpr_kernarg_segment_ptr 1
		.amdhsa_user_sgpr_dispatch_id 0
		.amdhsa_user_sgpr_flat_scratch_init 0
		.amdhsa_user_sgpr_private_segment_size 0
		.amdhsa_uses_dynamic_stack 0
		.amdhsa_system_sgpr_private_segment_wavefront_offset 0
		.amdhsa_system_sgpr_workgroup_id_x 1
		.amdhsa_system_sgpr_workgroup_id_y 1
		.amdhsa_system_sgpr_workgroup_id_z 1
		.amdhsa_system_sgpr_workgroup_info 0
		.amdhsa_system_vgpr_workitem_id 2
		.amdhsa_next_free_vgpr 15
		.amdhsa_next_free_sgpr 32
		.amdhsa_reserve_vcc 1
		.amdhsa_reserve_flat_scratch 0
		.amdhsa_float_round_mode_32 0
		.amdhsa_float_round_mode_16_64 0
		.amdhsa_float_denorm_mode_32 3
		.amdhsa_float_denorm_mode_16_64 3
		.amdhsa_dx10_clamp 1
		.amdhsa_ieee_mode 1
		.amdhsa_fp16_overflow 0
		.amdhsa_exception_fp_ieee_invalid_op 0
		.amdhsa_exception_fp_denorm_src 0
		.amdhsa_exception_fp_ieee_div_zero 0
		.amdhsa_exception_fp_ieee_overflow 0
		.amdhsa_exception_fp_ieee_underflow 0
		.amdhsa_exception_fp_ieee_inexact 0
		.amdhsa_exception_int_div_zero 0
	.end_amdhsa_kernel
	.section	.text._ZN4RAJA8internal22HipKernelLauncherFixedILi256ENS0_8LoopDataIN4camp5tupleIJNS_4SpanINS_9Iterators16numeric_iteratorIN8rajaperf4apps10ltimes_idx2IDElPSB_EElEENS5_INS7_INSA_2IZElPSF_EElEENS5_INS7_INSA_2IGElPSJ_EElEENS5_INS7_INSA_2IMElPSN_EElEEEEENS4_IJEEENS3_9resources2v13HipEJZNS9_6LTIMES17runHipVariantImplILm256ELm0EEEvNS8_9VariantIDEEUlSB_SF_SJ_SN_E_EEENS0_24HipStatementListExecutorIS10_NS3_4listIJNS_9statement3ForILl1ENS_6policy3hip11hip_indexerINS_17iteration_mapping6DirectELNS_23kernel_sync_requirementE0EJNS_3hip11IndexGlobalILNS_9named_dimE2ELi2ELi0EEEEEEJNS14_ILl2ENS17_IS19_LS1A_0EJNS1C_ILS1D_1ELi4ELi0EEEEEEJNS14_ILl3ENS17_IS19_LS1A_0EJNS1C_ILS1D_0ELi32ELi0EEEEEEJNS14_ILl0ENS15_10sequential8seq_execEJNS13_6LambdaILl0EJEEEEEEEEEEEEEEEEEENS0_9LoopTypesINS12_IJvvvvEEES1U_EEEEEEvT0_,"axG",@progbits,_ZN4RAJA8internal22HipKernelLauncherFixedILi256ENS0_8LoopDataIN4camp5tupleIJNS_4SpanINS_9Iterators16numeric_iteratorIN8rajaperf4apps10ltimes_idx2IDElPSB_EElEENS5_INS7_INSA_2IZElPSF_EElEENS5_INS7_INSA_2IGElPSJ_EElEENS5_INS7_INSA_2IMElPSN_EElEEEEENS4_IJEEENS3_9resources2v13HipEJZNS9_6LTIMES17runHipVariantImplILm256ELm0EEEvNS8_9VariantIDEEUlSB_SF_SJ_SN_E_EEENS0_24HipStatementListExecutorIS10_NS3_4listIJNS_9statement3ForILl1ENS_6policy3hip11hip_indexerINS_17iteration_mapping6DirectELNS_23kernel_sync_requirementE0EJNS_3hip11IndexGlobalILNS_9named_dimE2ELi2ELi0EEEEEEJNS14_ILl2ENS17_IS19_LS1A_0EJNS1C_ILS1D_1ELi4ELi0EEEEEEJNS14_ILl3ENS17_IS19_LS1A_0EJNS1C_ILS1D_0ELi32ELi0EEEEEEJNS14_ILl0ENS15_10sequential8seq_execEJNS13_6LambdaILl0EJEEEEEEEEEEEEEEEEEENS0_9LoopTypesINS12_IJvvvvEEES1U_EEEEEEvT0_,comdat
.Lfunc_end2:
	.size	_ZN4RAJA8internal22HipKernelLauncherFixedILi256ENS0_8LoopDataIN4camp5tupleIJNS_4SpanINS_9Iterators16numeric_iteratorIN8rajaperf4apps10ltimes_idx2IDElPSB_EElEENS5_INS7_INSA_2IZElPSF_EElEENS5_INS7_INSA_2IGElPSJ_EElEENS5_INS7_INSA_2IMElPSN_EElEEEEENS4_IJEEENS3_9resources2v13HipEJZNS9_6LTIMES17runHipVariantImplILm256ELm0EEEvNS8_9VariantIDEEUlSB_SF_SJ_SN_E_EEENS0_24HipStatementListExecutorIS10_NS3_4listIJNS_9statement3ForILl1ENS_6policy3hip11hip_indexerINS_17iteration_mapping6DirectELNS_23kernel_sync_requirementE0EJNS_3hip11IndexGlobalILNS_9named_dimE2ELi2ELi0EEEEEEJNS14_ILl2ENS17_IS19_LS1A_0EJNS1C_ILS1D_1ELi4ELi0EEEEEEJNS14_ILl3ENS17_IS19_LS1A_0EJNS1C_ILS1D_0ELi32ELi0EEEEEEJNS14_ILl0ENS15_10sequential8seq_execEJNS13_6LambdaILl0EJEEEEEEEEEEEEEEEEEENS0_9LoopTypesINS12_IJvvvvEEES1U_EEEEEEvT0_, .Lfunc_end2-_ZN4RAJA8internal22HipKernelLauncherFixedILi256ENS0_8LoopDataIN4camp5tupleIJNS_4SpanINS_9Iterators16numeric_iteratorIN8rajaperf4apps10ltimes_idx2IDElPSB_EElEENS5_INS7_INSA_2IZElPSF_EElEENS5_INS7_INSA_2IGElPSJ_EElEENS5_INS7_INSA_2IMElPSN_EElEEEEENS4_IJEEENS3_9resources2v13HipEJZNS9_6LTIMES17runHipVariantImplILm256ELm0EEEvNS8_9VariantIDEEUlSB_SF_SJ_SN_E_EEENS0_24HipStatementListExecutorIS10_NS3_4listIJNS_9statement3ForILl1ENS_6policy3hip11hip_indexerINS_17iteration_mapping6DirectELNS_23kernel_sync_requirementE0EJNS_3hip11IndexGlobalILNS_9named_dimE2ELi2ELi0EEEEEEJNS14_ILl2ENS17_IS19_LS1A_0EJNS1C_ILS1D_1ELi4ELi0EEEEEEJNS14_ILl3ENS17_IS19_LS1A_0EJNS1C_ILS1D_0ELi32ELi0EEEEEEJNS14_ILl0ENS15_10sequential8seq_execEJNS13_6LambdaILl0EJEEEEEEEEEEEEEEEEEENS0_9LoopTypesINS12_IJvvvvEEES1U_EEEEEEvT0_
                                        ; -- End function
	.set _ZN4RAJA8internal22HipKernelLauncherFixedILi256ENS0_8LoopDataIN4camp5tupleIJNS_4SpanINS_9Iterators16numeric_iteratorIN8rajaperf4apps10ltimes_idx2IDElPSB_EElEENS5_INS7_INSA_2IZElPSF_EElEENS5_INS7_INSA_2IGElPSJ_EElEENS5_INS7_INSA_2IMElPSN_EElEEEEENS4_IJEEENS3_9resources2v13HipEJZNS9_6LTIMES17runHipVariantImplILm256ELm0EEEvNS8_9VariantIDEEUlSB_SF_SJ_SN_E_EEENS0_24HipStatementListExecutorIS10_NS3_4listIJNS_9statement3ForILl1ENS_6policy3hip11hip_indexerINS_17iteration_mapping6DirectELNS_23kernel_sync_requirementE0EJNS_3hip11IndexGlobalILNS_9named_dimE2ELi2ELi0EEEEEEJNS14_ILl2ENS17_IS19_LS1A_0EJNS1C_ILS1D_1ELi4ELi0EEEEEEJNS14_ILl3ENS17_IS19_LS1A_0EJNS1C_ILS1D_0ELi32ELi0EEEEEEJNS14_ILl0ENS15_10sequential8seq_execEJNS13_6LambdaILl0EJEEEEEEEEEEEEEEEEEENS0_9LoopTypesINS12_IJvvvvEEES1U_EEEEEEvT0_.num_vgpr, 15
	.set _ZN4RAJA8internal22HipKernelLauncherFixedILi256ENS0_8LoopDataIN4camp5tupleIJNS_4SpanINS_9Iterators16numeric_iteratorIN8rajaperf4apps10ltimes_idx2IDElPSB_EElEENS5_INS7_INSA_2IZElPSF_EElEENS5_INS7_INSA_2IGElPSJ_EElEENS5_INS7_INSA_2IMElPSN_EElEEEEENS4_IJEEENS3_9resources2v13HipEJZNS9_6LTIMES17runHipVariantImplILm256ELm0EEEvNS8_9VariantIDEEUlSB_SF_SJ_SN_E_EEENS0_24HipStatementListExecutorIS10_NS3_4listIJNS_9statement3ForILl1ENS_6policy3hip11hip_indexerINS_17iteration_mapping6DirectELNS_23kernel_sync_requirementE0EJNS_3hip11IndexGlobalILNS_9named_dimE2ELi2ELi0EEEEEEJNS14_ILl2ENS17_IS19_LS1A_0EJNS1C_ILS1D_1ELi4ELi0EEEEEEJNS14_ILl3ENS17_IS19_LS1A_0EJNS1C_ILS1D_0ELi32ELi0EEEEEEJNS14_ILl0ENS15_10sequential8seq_execEJNS13_6LambdaILl0EJEEEEEEEEEEEEEEEEEENS0_9LoopTypesINS12_IJvvvvEEES1U_EEEEEEvT0_.num_agpr, 0
	.set _ZN4RAJA8internal22HipKernelLauncherFixedILi256ENS0_8LoopDataIN4camp5tupleIJNS_4SpanINS_9Iterators16numeric_iteratorIN8rajaperf4apps10ltimes_idx2IDElPSB_EElEENS5_INS7_INSA_2IZElPSF_EElEENS5_INS7_INSA_2IGElPSJ_EElEENS5_INS7_INSA_2IMElPSN_EElEEEEENS4_IJEEENS3_9resources2v13HipEJZNS9_6LTIMES17runHipVariantImplILm256ELm0EEEvNS8_9VariantIDEEUlSB_SF_SJ_SN_E_EEENS0_24HipStatementListExecutorIS10_NS3_4listIJNS_9statement3ForILl1ENS_6policy3hip11hip_indexerINS_17iteration_mapping6DirectELNS_23kernel_sync_requirementE0EJNS_3hip11IndexGlobalILNS_9named_dimE2ELi2ELi0EEEEEEJNS14_ILl2ENS17_IS19_LS1A_0EJNS1C_ILS1D_1ELi4ELi0EEEEEEJNS14_ILl3ENS17_IS19_LS1A_0EJNS1C_ILS1D_0ELi32ELi0EEEEEEJNS14_ILl0ENS15_10sequential8seq_execEJNS13_6LambdaILl0EJEEEEEEEEEEEEEEEEEENS0_9LoopTypesINS12_IJvvvvEEES1U_EEEEEEvT0_.numbered_sgpr, 32
	.set _ZN4RAJA8internal22HipKernelLauncherFixedILi256ENS0_8LoopDataIN4camp5tupleIJNS_4SpanINS_9Iterators16numeric_iteratorIN8rajaperf4apps10ltimes_idx2IDElPSB_EElEENS5_INS7_INSA_2IZElPSF_EElEENS5_INS7_INSA_2IGElPSJ_EElEENS5_INS7_INSA_2IMElPSN_EElEEEEENS4_IJEEENS3_9resources2v13HipEJZNS9_6LTIMES17runHipVariantImplILm256ELm0EEEvNS8_9VariantIDEEUlSB_SF_SJ_SN_E_EEENS0_24HipStatementListExecutorIS10_NS3_4listIJNS_9statement3ForILl1ENS_6policy3hip11hip_indexerINS_17iteration_mapping6DirectELNS_23kernel_sync_requirementE0EJNS_3hip11IndexGlobalILNS_9named_dimE2ELi2ELi0EEEEEEJNS14_ILl2ENS17_IS19_LS1A_0EJNS1C_ILS1D_1ELi4ELi0EEEEEEJNS14_ILl3ENS17_IS19_LS1A_0EJNS1C_ILS1D_0ELi32ELi0EEEEEEJNS14_ILl0ENS15_10sequential8seq_execEJNS13_6LambdaILl0EJEEEEEEEEEEEEEEEEEENS0_9LoopTypesINS12_IJvvvvEEES1U_EEEEEEvT0_.num_named_barrier, 0
	.set _ZN4RAJA8internal22HipKernelLauncherFixedILi256ENS0_8LoopDataIN4camp5tupleIJNS_4SpanINS_9Iterators16numeric_iteratorIN8rajaperf4apps10ltimes_idx2IDElPSB_EElEENS5_INS7_INSA_2IZElPSF_EElEENS5_INS7_INSA_2IGElPSJ_EElEENS5_INS7_INSA_2IMElPSN_EElEEEEENS4_IJEEENS3_9resources2v13HipEJZNS9_6LTIMES17runHipVariantImplILm256ELm0EEEvNS8_9VariantIDEEUlSB_SF_SJ_SN_E_EEENS0_24HipStatementListExecutorIS10_NS3_4listIJNS_9statement3ForILl1ENS_6policy3hip11hip_indexerINS_17iteration_mapping6DirectELNS_23kernel_sync_requirementE0EJNS_3hip11IndexGlobalILNS_9named_dimE2ELi2ELi0EEEEEEJNS14_ILl2ENS17_IS19_LS1A_0EJNS1C_ILS1D_1ELi4ELi0EEEEEEJNS14_ILl3ENS17_IS19_LS1A_0EJNS1C_ILS1D_0ELi32ELi0EEEEEEJNS14_ILl0ENS15_10sequential8seq_execEJNS13_6LambdaILl0EJEEEEEEEEEEEEEEEEEENS0_9LoopTypesINS12_IJvvvvEEES1U_EEEEEEvT0_.private_seg_size, 0
	.set _ZN4RAJA8internal22HipKernelLauncherFixedILi256ENS0_8LoopDataIN4camp5tupleIJNS_4SpanINS_9Iterators16numeric_iteratorIN8rajaperf4apps10ltimes_idx2IDElPSB_EElEENS5_INS7_INSA_2IZElPSF_EElEENS5_INS7_INSA_2IGElPSJ_EElEENS5_INS7_INSA_2IMElPSN_EElEEEEENS4_IJEEENS3_9resources2v13HipEJZNS9_6LTIMES17runHipVariantImplILm256ELm0EEEvNS8_9VariantIDEEUlSB_SF_SJ_SN_E_EEENS0_24HipStatementListExecutorIS10_NS3_4listIJNS_9statement3ForILl1ENS_6policy3hip11hip_indexerINS_17iteration_mapping6DirectELNS_23kernel_sync_requirementE0EJNS_3hip11IndexGlobalILNS_9named_dimE2ELi2ELi0EEEEEEJNS14_ILl2ENS17_IS19_LS1A_0EJNS1C_ILS1D_1ELi4ELi0EEEEEEJNS14_ILl3ENS17_IS19_LS1A_0EJNS1C_ILS1D_0ELi32ELi0EEEEEEJNS14_ILl0ENS15_10sequential8seq_execEJNS13_6LambdaILl0EJEEEEEEEEEEEEEEEEEENS0_9LoopTypesINS12_IJvvvvEEES1U_EEEEEEvT0_.uses_vcc, 1
	.set _ZN4RAJA8internal22HipKernelLauncherFixedILi256ENS0_8LoopDataIN4camp5tupleIJNS_4SpanINS_9Iterators16numeric_iteratorIN8rajaperf4apps10ltimes_idx2IDElPSB_EElEENS5_INS7_INSA_2IZElPSF_EElEENS5_INS7_INSA_2IGElPSJ_EElEENS5_INS7_INSA_2IMElPSN_EElEEEEENS4_IJEEENS3_9resources2v13HipEJZNS9_6LTIMES17runHipVariantImplILm256ELm0EEEvNS8_9VariantIDEEUlSB_SF_SJ_SN_E_EEENS0_24HipStatementListExecutorIS10_NS3_4listIJNS_9statement3ForILl1ENS_6policy3hip11hip_indexerINS_17iteration_mapping6DirectELNS_23kernel_sync_requirementE0EJNS_3hip11IndexGlobalILNS_9named_dimE2ELi2ELi0EEEEEEJNS14_ILl2ENS17_IS19_LS1A_0EJNS1C_ILS1D_1ELi4ELi0EEEEEEJNS14_ILl3ENS17_IS19_LS1A_0EJNS1C_ILS1D_0ELi32ELi0EEEEEEJNS14_ILl0ENS15_10sequential8seq_execEJNS13_6LambdaILl0EJEEEEEEEEEEEEEEEEEENS0_9LoopTypesINS12_IJvvvvEEES1U_EEEEEEvT0_.uses_flat_scratch, 0
	.set _ZN4RAJA8internal22HipKernelLauncherFixedILi256ENS0_8LoopDataIN4camp5tupleIJNS_4SpanINS_9Iterators16numeric_iteratorIN8rajaperf4apps10ltimes_idx2IDElPSB_EElEENS5_INS7_INSA_2IZElPSF_EElEENS5_INS7_INSA_2IGElPSJ_EElEENS5_INS7_INSA_2IMElPSN_EElEEEEENS4_IJEEENS3_9resources2v13HipEJZNS9_6LTIMES17runHipVariantImplILm256ELm0EEEvNS8_9VariantIDEEUlSB_SF_SJ_SN_E_EEENS0_24HipStatementListExecutorIS10_NS3_4listIJNS_9statement3ForILl1ENS_6policy3hip11hip_indexerINS_17iteration_mapping6DirectELNS_23kernel_sync_requirementE0EJNS_3hip11IndexGlobalILNS_9named_dimE2ELi2ELi0EEEEEEJNS14_ILl2ENS17_IS19_LS1A_0EJNS1C_ILS1D_1ELi4ELi0EEEEEEJNS14_ILl3ENS17_IS19_LS1A_0EJNS1C_ILS1D_0ELi32ELi0EEEEEEJNS14_ILl0ENS15_10sequential8seq_execEJNS13_6LambdaILl0EJEEEEEEEEEEEEEEEEEENS0_9LoopTypesINS12_IJvvvvEEES1U_EEEEEEvT0_.has_dyn_sized_stack, 0
	.set _ZN4RAJA8internal22HipKernelLauncherFixedILi256ENS0_8LoopDataIN4camp5tupleIJNS_4SpanINS_9Iterators16numeric_iteratorIN8rajaperf4apps10ltimes_idx2IDElPSB_EElEENS5_INS7_INSA_2IZElPSF_EElEENS5_INS7_INSA_2IGElPSJ_EElEENS5_INS7_INSA_2IMElPSN_EElEEEEENS4_IJEEENS3_9resources2v13HipEJZNS9_6LTIMES17runHipVariantImplILm256ELm0EEEvNS8_9VariantIDEEUlSB_SF_SJ_SN_E_EEENS0_24HipStatementListExecutorIS10_NS3_4listIJNS_9statement3ForILl1ENS_6policy3hip11hip_indexerINS_17iteration_mapping6DirectELNS_23kernel_sync_requirementE0EJNS_3hip11IndexGlobalILNS_9named_dimE2ELi2ELi0EEEEEEJNS14_ILl2ENS17_IS19_LS1A_0EJNS1C_ILS1D_1ELi4ELi0EEEEEEJNS14_ILl3ENS17_IS19_LS1A_0EJNS1C_ILS1D_0ELi32ELi0EEEEEEJNS14_ILl0ENS15_10sequential8seq_execEJNS13_6LambdaILl0EJEEEEEEEEEEEEEEEEEENS0_9LoopTypesINS12_IJvvvvEEES1U_EEEEEEvT0_.has_recursion, 0
	.set _ZN4RAJA8internal22HipKernelLauncherFixedILi256ENS0_8LoopDataIN4camp5tupleIJNS_4SpanINS_9Iterators16numeric_iteratorIN8rajaperf4apps10ltimes_idx2IDElPSB_EElEENS5_INS7_INSA_2IZElPSF_EElEENS5_INS7_INSA_2IGElPSJ_EElEENS5_INS7_INSA_2IMElPSN_EElEEEEENS4_IJEEENS3_9resources2v13HipEJZNS9_6LTIMES17runHipVariantImplILm256ELm0EEEvNS8_9VariantIDEEUlSB_SF_SJ_SN_E_EEENS0_24HipStatementListExecutorIS10_NS3_4listIJNS_9statement3ForILl1ENS_6policy3hip11hip_indexerINS_17iteration_mapping6DirectELNS_23kernel_sync_requirementE0EJNS_3hip11IndexGlobalILNS_9named_dimE2ELi2ELi0EEEEEEJNS14_ILl2ENS17_IS19_LS1A_0EJNS1C_ILS1D_1ELi4ELi0EEEEEEJNS14_ILl3ENS17_IS19_LS1A_0EJNS1C_ILS1D_0ELi32ELi0EEEEEEJNS14_ILl0ENS15_10sequential8seq_execEJNS13_6LambdaILl0EJEEEEEEEEEEEEEEEEEENS0_9LoopTypesINS12_IJvvvvEEES1U_EEEEEEvT0_.has_indirect_call, 0
	.section	.AMDGPU.csdata,"",@progbits
; Kernel info:
; codeLenInByte = 652
; TotalNumSgprs: 36
; NumVgprs: 15
; ScratchSize: 0
; MemoryBound: 1
; FloatMode: 240
; IeeeMode: 1
; LDSByteSize: 0 bytes/workgroup (compile time only)
; SGPRBlocks: 4
; VGPRBlocks: 3
; NumSGPRsForWavesPerEU: 36
; NumVGPRsForWavesPerEU: 15
; Occupancy: 10
; WaveLimiterHint : 1
; COMPUTE_PGM_RSRC2:SCRATCH_EN: 0
; COMPUTE_PGM_RSRC2:USER_SGPR: 6
; COMPUTE_PGM_RSRC2:TRAP_HANDLER: 0
; COMPUTE_PGM_RSRC2:TGID_X_EN: 1
; COMPUTE_PGM_RSRC2:TGID_Y_EN: 1
; COMPUTE_PGM_RSRC2:TGID_Z_EN: 1
; COMPUTE_PGM_RSRC2:TIDIG_COMP_CNT: 2
	.section	.text._ZN8rajaperf4apps10ltimes_lamILm32ELm4ELm2EZNS0_6LTIMES17runHipVariantImplILm256ELm1EEEvNS_9VariantIDEEUlNS0_10ltimes_idx2IZENS5_2IGENS5_2IMEE_EEvS8_S7_S6_T2_,"axG",@progbits,_ZN8rajaperf4apps10ltimes_lamILm32ELm4ELm2EZNS0_6LTIMES17runHipVariantImplILm256ELm1EEEvNS_9VariantIDEEUlNS0_10ltimes_idx2IZENS5_2IGENS5_2IMEE_EEvS8_S7_S6_T2_,comdat
	.protected	_ZN8rajaperf4apps10ltimes_lamILm32ELm4ELm2EZNS0_6LTIMES17runHipVariantImplILm256ELm1EEEvNS_9VariantIDEEUlNS0_10ltimes_idx2IZENS5_2IGENS5_2IMEE_EEvS8_S7_S6_T2_ ; -- Begin function _ZN8rajaperf4apps10ltimes_lamILm32ELm4ELm2EZNS0_6LTIMES17runHipVariantImplILm256ELm1EEEvNS_9VariantIDEEUlNS0_10ltimes_idx2IZENS5_2IGENS5_2IMEE_EEvS8_S7_S6_T2_
	.globl	_ZN8rajaperf4apps10ltimes_lamILm32ELm4ELm2EZNS0_6LTIMES17runHipVariantImplILm256ELm1EEEvNS_9VariantIDEEUlNS0_10ltimes_idx2IZENS5_2IGENS5_2IMEE_EEvS8_S7_S6_T2_
	.p2align	8
	.type	_ZN8rajaperf4apps10ltimes_lamILm32ELm4ELm2EZNS0_6LTIMES17runHipVariantImplILm256ELm1EEEvNS_9VariantIDEEUlNS0_10ltimes_idx2IZENS5_2IGENS5_2IMEE_EEvS8_S7_S6_T2_,@function
_ZN8rajaperf4apps10ltimes_lamILm32ELm4ELm2EZNS0_6LTIMES17runHipVariantImplILm256ELm1EEEvNS_9VariantIDEEUlNS0_10ltimes_idx2IZENS5_2IGENS5_2IMEE_EEvS8_S7_S6_T2_: ; @_ZN8rajaperf4apps10ltimes_lamILm32ELm4ELm2EZNS0_6LTIMES17runHipVariantImplILm256ELm1EEEvNS_9VariantIDEEUlNS0_10ltimes_idx2IZENS5_2IGENS5_2IMEE_EEvS8_S7_S6_T2_
; %bb.0:
	s_mov_b32 s0, s7
	s_mov_b32 s7, 0
	s_load_dwordx8 s[12:19], s[4:5], 0x0
	s_lshl_b64 s[2:3], s[6:7], 5
	v_mov_b32_e32 v4, s3
	v_add_co_u32_e32 v3, vcc, s2, v0
	s_mov_b32 s1, s7
	v_addc_co_u32_e32 v4, vcc, 0, v4, vcc
	s_lshl_b64 s[0:1], s[0:1], 2
	v_mov_b32_e32 v5, s1
	v_add_co_u32_e32 v0, vcc, s0, v1
	s_mov_b32 s9, s7
	v_addc_co_u32_e32 v1, vcc, 0, v5, vcc
	s_lshl_b64 s[2:3], s[8:9], 1
	v_mov_b32_e32 v6, s3
	s_waitcnt lgkmcnt(0)
	v_cmp_gt_i64_e32 vcc, s[12:13], v[3:4]
	v_cmp_gt_i64_e64 s[0:1], s[14:15], v[0:1]
	v_add_co_u32_e64 v5, s[2:3], s2, v2
	v_addc_co_u32_e64 v6, s[2:3], 0, v6, s[2:3]
	s_and_b64 s[0:1], vcc, s[0:1]
	v_cmp_gt_i64_e32 vcc, s[16:17], v[5:6]
	v_cmp_gt_i64_e64 s[2:3], s[18:19], 0
	s_and_b64 s[0:1], s[0:1], vcc
	s_and_b64 s[0:1], s[0:1], s[2:3]
	s_and_saveexec_b64 s[2:3], s[0:1]
	s_cbranch_execz .LBB3_3
; %bb.1:
	s_load_dwordx4 s[0:3], s[4:5], 0x40
	s_waitcnt lgkmcnt(0)
	v_mul_lo_u32 v2, s1, v5
	v_mul_lo_u32 v11, s0, v6
	v_mad_u64_u32 v[7:8], s[0:1], s0, v5, 0
	v_mul_lo_u32 v12, s3, v0
	v_mul_lo_u32 v13, s2, v1
	v_mad_u64_u32 v[9:10], s[0:1], s2, v0, 0
	s_load_dwordx2 s[0:1], s[4:5], 0x20
	v_add3_u32 v8, v8, v11, v2
	v_add3_u32 v10, v10, v13, v12
	v_lshlrev_b64 v[9:10], 3, v[9:10]
	v_lshlrev_b64 v[7:8], 3, v[7:8]
	s_waitcnt lgkmcnt(0)
	v_mov_b32_e32 v2, s1
	v_add_co_u32_e32 v9, vcc, s0, v9
	v_addc_co_u32_e32 v2, vcc, v2, v10, vcc
	v_add_co_u32_e32 v9, vcc, v9, v7
	v_addc_co_u32_e32 v2, vcc, v2, v8, vcc
	v_lshlrev_b64 v[7:8], 3, v[3:4]
	v_add_co_u32_e32 v7, vcc, v9, v7
	v_addc_co_u32_e32 v8, vcc, v2, v8, vcc
	global_load_dwordx2 v[9:10], v[7:8], off
	s_load_dwordx2 s[0:1], s[4:5], 0xa0
	s_load_dwordx2 s[6:7], s[4:5], 0x88
	s_waitcnt lgkmcnt(0)
	v_mul_lo_u32 v11, s1, v3
	v_mul_lo_u32 v4, s0, v4
	v_mad_u64_u32 v[2:3], s[0:1], s0, v3, 0
	s_load_dwordx4 s[0:3], s[4:5], 0xf0
	s_load_dwordx2 s[8:9], s[4:5], 0xd0
	v_mov_b32_e32 v13, s7
	v_add3_u32 v3, v3, v4, v11
	v_lshlrev_b64 v[2:3], 3, v[2:3]
	s_waitcnt lgkmcnt(0)
	v_mul_lo_u32 v14, s1, v5
	v_mul_lo_u32 v6, s0, v6
	v_mad_u64_u32 v[4:5], s[0:1], s0, v5, 0
	v_mul_lo_u32 v15, s3, v0
	v_mul_lo_u32 v16, s2, v1
	v_mad_u64_u32 v[11:12], s[0:1], s2, v0, 0
	v_add_co_u32_e32 v0, vcc, s6, v2
	v_add3_u32 v12, v12, v16, v15
	v_addc_co_u32_e32 v1, vcc, v13, v3, vcc
	v_lshlrev_b64 v[2:3], 3, v[11:12]
	v_add3_u32 v5, v5, v6, v14
	v_mov_b32_e32 v6, s9
	v_add_co_u32_e32 v11, vcc, s8, v2
	v_addc_co_u32_e32 v6, vcc, v6, v3, vcc
	v_lshlrev_b64 v[2:3], 3, v[4:5]
	v_add_co_u32_e32 v2, vcc, v11, v2
	v_addc_co_u32_e32 v3, vcc, v6, v3, vcc
.LBB3_2:                                ; =>This Inner Loop Header: Depth=1
	global_load_dwordx2 v[4:5], v[0:1], off
	global_load_dwordx2 v[11:12], v[2:3], off
	v_add_co_u32_e32 v0, vcc, 8, v0
	v_addc_co_u32_e32 v1, vcc, 0, v1, vcc
	s_add_u32 s18, s18, -1
	v_add_co_u32_e32 v2, vcc, 8, v2
	s_addc_u32 s19, s19, -1
	v_addc_co_u32_e32 v3, vcc, 0, v3, vcc
	s_cmp_lg_u64 s[18:19], 0
	s_waitcnt vmcnt(0)
	v_fma_f64 v[9:10], v[4:5], v[11:12], v[9:10]
	global_store_dwordx2 v[7:8], v[9:10], off
	s_cbranch_scc1 .LBB3_2
.LBB3_3:
	s_endpgm
	.section	.rodata,"a",@progbits
	.p2align	6, 0x0
	.amdhsa_kernel _ZN8rajaperf4apps10ltimes_lamILm32ELm4ELm2EZNS0_6LTIMES17runHipVariantImplILm256ELm1EEEvNS_9VariantIDEEUlNS0_10ltimes_idx2IZENS5_2IGENS5_2IMEE_EEvS8_S7_S6_T2_
		.amdhsa_group_segment_fixed_size 0
		.amdhsa_private_segment_fixed_size 0
		.amdhsa_kernarg_size 312
		.amdhsa_user_sgpr_count 6
		.amdhsa_user_sgpr_private_segment_buffer 1
		.amdhsa_user_sgpr_dispatch_ptr 0
		.amdhsa_user_sgpr_queue_ptr 0
		.amdhsa_user_sgpr_kernarg_segment_ptr 1
		.amdhsa_user_sgpr_dispatch_id 0
		.amdhsa_user_sgpr_flat_scratch_init 0
		.amdhsa_user_sgpr_private_segment_size 0
		.amdhsa_uses_dynamic_stack 0
		.amdhsa_system_sgpr_private_segment_wavefront_offset 0
		.amdhsa_system_sgpr_workgroup_id_x 1
		.amdhsa_system_sgpr_workgroup_id_y 1
		.amdhsa_system_sgpr_workgroup_id_z 1
		.amdhsa_system_sgpr_workgroup_info 0
		.amdhsa_system_vgpr_workitem_id 2
		.amdhsa_next_free_vgpr 17
		.amdhsa_next_free_sgpr 20
		.amdhsa_reserve_vcc 1
		.amdhsa_reserve_flat_scratch 0
		.amdhsa_float_round_mode_32 0
		.amdhsa_float_round_mode_16_64 0
		.amdhsa_float_denorm_mode_32 3
		.amdhsa_float_denorm_mode_16_64 3
		.amdhsa_dx10_clamp 1
		.amdhsa_ieee_mode 1
		.amdhsa_fp16_overflow 0
		.amdhsa_exception_fp_ieee_invalid_op 0
		.amdhsa_exception_fp_denorm_src 0
		.amdhsa_exception_fp_ieee_div_zero 0
		.amdhsa_exception_fp_ieee_overflow 0
		.amdhsa_exception_fp_ieee_underflow 0
		.amdhsa_exception_fp_ieee_inexact 0
		.amdhsa_exception_int_div_zero 0
	.end_amdhsa_kernel
	.section	.text._ZN8rajaperf4apps10ltimes_lamILm32ELm4ELm2EZNS0_6LTIMES17runHipVariantImplILm256ELm1EEEvNS_9VariantIDEEUlNS0_10ltimes_idx2IZENS5_2IGENS5_2IMEE_EEvS8_S7_S6_T2_,"axG",@progbits,_ZN8rajaperf4apps10ltimes_lamILm32ELm4ELm2EZNS0_6LTIMES17runHipVariantImplILm256ELm1EEEvNS_9VariantIDEEUlNS0_10ltimes_idx2IZENS5_2IGENS5_2IMEE_EEvS8_S7_S6_T2_,comdat
.Lfunc_end3:
	.size	_ZN8rajaperf4apps10ltimes_lamILm32ELm4ELm2EZNS0_6LTIMES17runHipVariantImplILm256ELm1EEEvNS_9VariantIDEEUlNS0_10ltimes_idx2IZENS5_2IGENS5_2IMEE_EEvS8_S7_S6_T2_, .Lfunc_end3-_ZN8rajaperf4apps10ltimes_lamILm32ELm4ELm2EZNS0_6LTIMES17runHipVariantImplILm256ELm1EEEvNS_9VariantIDEEUlNS0_10ltimes_idx2IZENS5_2IGENS5_2IMEE_EEvS8_S7_S6_T2_
                                        ; -- End function
	.set _ZN8rajaperf4apps10ltimes_lamILm32ELm4ELm2EZNS0_6LTIMES17runHipVariantImplILm256ELm1EEEvNS_9VariantIDEEUlNS0_10ltimes_idx2IZENS5_2IGENS5_2IMEE_EEvS8_S7_S6_T2_.num_vgpr, 17
	.set _ZN8rajaperf4apps10ltimes_lamILm32ELm4ELm2EZNS0_6LTIMES17runHipVariantImplILm256ELm1EEEvNS_9VariantIDEEUlNS0_10ltimes_idx2IZENS5_2IGENS5_2IMEE_EEvS8_S7_S6_T2_.num_agpr, 0
	.set _ZN8rajaperf4apps10ltimes_lamILm32ELm4ELm2EZNS0_6LTIMES17runHipVariantImplILm256ELm1EEEvNS_9VariantIDEEUlNS0_10ltimes_idx2IZENS5_2IGENS5_2IMEE_EEvS8_S7_S6_T2_.numbered_sgpr, 20
	.set _ZN8rajaperf4apps10ltimes_lamILm32ELm4ELm2EZNS0_6LTIMES17runHipVariantImplILm256ELm1EEEvNS_9VariantIDEEUlNS0_10ltimes_idx2IZENS5_2IGENS5_2IMEE_EEvS8_S7_S6_T2_.num_named_barrier, 0
	.set _ZN8rajaperf4apps10ltimes_lamILm32ELm4ELm2EZNS0_6LTIMES17runHipVariantImplILm256ELm1EEEvNS_9VariantIDEEUlNS0_10ltimes_idx2IZENS5_2IGENS5_2IMEE_EEvS8_S7_S6_T2_.private_seg_size, 0
	.set _ZN8rajaperf4apps10ltimes_lamILm32ELm4ELm2EZNS0_6LTIMES17runHipVariantImplILm256ELm1EEEvNS_9VariantIDEEUlNS0_10ltimes_idx2IZENS5_2IGENS5_2IMEE_EEvS8_S7_S6_T2_.uses_vcc, 1
	.set _ZN8rajaperf4apps10ltimes_lamILm32ELm4ELm2EZNS0_6LTIMES17runHipVariantImplILm256ELm1EEEvNS_9VariantIDEEUlNS0_10ltimes_idx2IZENS5_2IGENS5_2IMEE_EEvS8_S7_S6_T2_.uses_flat_scratch, 0
	.set _ZN8rajaperf4apps10ltimes_lamILm32ELm4ELm2EZNS0_6LTIMES17runHipVariantImplILm256ELm1EEEvNS_9VariantIDEEUlNS0_10ltimes_idx2IZENS5_2IGENS5_2IMEE_EEvS8_S7_S6_T2_.has_dyn_sized_stack, 0
	.set _ZN8rajaperf4apps10ltimes_lamILm32ELm4ELm2EZNS0_6LTIMES17runHipVariantImplILm256ELm1EEEvNS_9VariantIDEEUlNS0_10ltimes_idx2IZENS5_2IGENS5_2IMEE_EEvS8_S7_S6_T2_.has_recursion, 0
	.set _ZN8rajaperf4apps10ltimes_lamILm32ELm4ELm2EZNS0_6LTIMES17runHipVariantImplILm256ELm1EEEvNS_9VariantIDEEUlNS0_10ltimes_idx2IZENS5_2IGENS5_2IMEE_EEvS8_S7_S6_T2_.has_indirect_call, 0
	.section	.AMDGPU.csdata,"",@progbits
; Kernel info:
; codeLenInByte = 540
; TotalNumSgprs: 24
; NumVgprs: 17
; ScratchSize: 0
; MemoryBound: 0
; FloatMode: 240
; IeeeMode: 1
; LDSByteSize: 0 bytes/workgroup (compile time only)
; SGPRBlocks: 2
; VGPRBlocks: 4
; NumSGPRsForWavesPerEU: 24
; NumVGPRsForWavesPerEU: 17
; Occupancy: 10
; WaveLimiterHint : 1
; COMPUTE_PGM_RSRC2:SCRATCH_EN: 0
; COMPUTE_PGM_RSRC2:USER_SGPR: 6
; COMPUTE_PGM_RSRC2:TRAP_HANDLER: 0
; COMPUTE_PGM_RSRC2:TGID_X_EN: 1
; COMPUTE_PGM_RSRC2:TGID_Y_EN: 1
; COMPUTE_PGM_RSRC2:TGID_Z_EN: 1
; COMPUTE_PGM_RSRC2:TIDIG_COMP_CNT: 2
	.section	.text._ZN4RAJA34launch_new_reduce_global_fcn_fixedIZN8rajaperf4apps6LTIMES17runHipVariantImplILm256ELm1EEEvNS1_9VariantIDEEUlNS_14LaunchContextTINS_3hip33LaunchContextIndicesAndDimsPolicyINS7_14IndicesAndDimsILb0ELb0ELb0ELb0EEEEEEEE_Li256ENS_4expt15ForallParamPackIJEEEEEvT_T1_,"axG",@progbits,_ZN4RAJA34launch_new_reduce_global_fcn_fixedIZN8rajaperf4apps6LTIMES17runHipVariantImplILm256ELm1EEEvNS1_9VariantIDEEUlNS_14LaunchContextTINS_3hip33LaunchContextIndicesAndDimsPolicyINS7_14IndicesAndDimsILb0ELb0ELb0ELb0EEEEEEEE_Li256ENS_4expt15ForallParamPackIJEEEEEvT_T1_,comdat
	.protected	_ZN4RAJA34launch_new_reduce_global_fcn_fixedIZN8rajaperf4apps6LTIMES17runHipVariantImplILm256ELm1EEEvNS1_9VariantIDEEUlNS_14LaunchContextTINS_3hip33LaunchContextIndicesAndDimsPolicyINS7_14IndicesAndDimsILb0ELb0ELb0ELb0EEEEEEEE_Li256ENS_4expt15ForallParamPackIJEEEEEvT_T1_ ; -- Begin function _ZN4RAJA34launch_new_reduce_global_fcn_fixedIZN8rajaperf4apps6LTIMES17runHipVariantImplILm256ELm1EEEvNS1_9VariantIDEEUlNS_14LaunchContextTINS_3hip33LaunchContextIndicesAndDimsPolicyINS7_14IndicesAndDimsILb0ELb0ELb0ELb0EEEEEEEE_Li256ENS_4expt15ForallParamPackIJEEEEEvT_T1_
	.globl	_ZN4RAJA34launch_new_reduce_global_fcn_fixedIZN8rajaperf4apps6LTIMES17runHipVariantImplILm256ELm1EEEvNS1_9VariantIDEEUlNS_14LaunchContextTINS_3hip33LaunchContextIndicesAndDimsPolicyINS7_14IndicesAndDimsILb0ELb0ELb0ELb0EEEEEEEE_Li256ENS_4expt15ForallParamPackIJEEEEEvT_T1_
	.p2align	8
	.type	_ZN4RAJA34launch_new_reduce_global_fcn_fixedIZN8rajaperf4apps6LTIMES17runHipVariantImplILm256ELm1EEEvNS1_9VariantIDEEUlNS_14LaunchContextTINS_3hip33LaunchContextIndicesAndDimsPolicyINS7_14IndicesAndDimsILb0ELb0ELb0ELb0EEEEEEEE_Li256ENS_4expt15ForallParamPackIJEEEEEvT_T1_,@function
_ZN4RAJA34launch_new_reduce_global_fcn_fixedIZN8rajaperf4apps6LTIMES17runHipVariantImplILm256ELm1EEEvNS1_9VariantIDEEUlNS_14LaunchContextTINS_3hip33LaunchContextIndicesAndDimsPolicyINS7_14IndicesAndDimsILb0ELb0ELb0ELb0EEEEEEEE_Li256ENS_4expt15ForallParamPackIJEEEEEvT_T1_: ; @_ZN4RAJA34launch_new_reduce_global_fcn_fixedIZN8rajaperf4apps6LTIMES17runHipVariantImplILm256ELm1EEEvNS1_9VariantIDEEUlNS_14LaunchContextTINS_3hip33LaunchContextIndicesAndDimsPolicyINS7_14IndicesAndDimsILb0ELb0ELb0ELb0EEEEEEEE_Li256ENS_4expt15ForallParamPackIJEEEEEvT_T1_
; %bb.0:
	s_load_dwordx4 s[12:15], s[4:5], 0x0
	s_mov_b32 s9, 0
	s_lshl_b64 s[2:3], s[8:9], 1
	v_mov_b32_e32 v3, s3
	v_add_co_u32_e32 v2, vcc, s2, v2
	v_addc_co_u32_e32 v3, vcc, 0, v3, vcc
	s_waitcnt lgkmcnt(0)
	v_cmp_gt_i64_e32 vcc, s[12:13], v[2:3]
	s_and_saveexec_b64 s[2:3], vcc
	s_cbranch_execz .LBB4_12
; %bb.1:
	s_mov_b32 s0, s7
	s_load_dwordx4 s[16:19], s[4:5], 0x10
	s_load_dwordx2 s[10:11], s[4:5], 0x20
	s_load_dwordx4 s[20:23], s[4:5], 0x40
	s_load_dwordx2 s[34:35], s[4:5], 0x88
	;; [unrolled: 2-line block ×3, first 2 shown]
	s_load_dwordx2 s[38:39], s[4:5], 0xa0
	s_load_dwordx2 s[40:41], s[4:5], 0xd0
	s_add_u32 s4, s4, 0x140
	s_mov_b32 s1, s9
	s_addc_u32 s5, s5, 0
	s_lshl_b64 s[0:1], s[0:1], 2
	v_mov_b32_e32 v5, s1
	v_add_co_u32_e32 v4, vcc, s0, v1
	s_mov_b32 s7, s9
	s_waitcnt lgkmcnt(0)
	s_mov_b32 s8, s37
	v_addc_co_u32_e32 v5, vcc, 0, v5, vcc
	s_lshl_b64 s[2:3], s[6:7], 5
	s_lshl_b64 s[28:29], s[8:9], 1
	s_mov_b32 s8, s36
	v_mov_b32_e32 v1, s3
	v_add_co_u32_e32 v0, vcc, s2, v0
	v_cmp_gt_i64_e64 s[42:43], s[18:19], 0
	s_lshl_b64 s[30:31], s[8:9], 2
	v_addc_co_u32_e32 v1, vcc, 0, v1, vcc
	s_and_b64 s[42:43], s[42:43], exec
	v_mul_lo_u32 v8, s39, v0
	v_mul_lo_u32 v9, s38, v1
	v_mad_u64_u32 v[6:7], s[42:43], s38, v0, 0
	v_mul_lo_u32 v12, s27, v4
	v_mul_lo_u32 v13, s26, v5
	v_add3_u32 v7, v7, v9, v8
	v_lshlrev_b64 v[6:7], 3, v[6:7]
	v_mov_b32_e32 v8, s35
	v_add_co_u32_e32 v6, vcc, s34, v6
	v_addc_co_u32_e32 v7, vcc, v8, v7, vcc
	v_mad_u64_u32 v[8:9], s[34:35], s26, v4, 0
	v_mul_lo_u32 v14, s25, v2
	v_mul_lo_u32 v15, s24, v3
	v_mad_u64_u32 v[10:11], s[34:35], s24, v2, 0
	v_add3_u32 v9, v9, v13, v12
	v_lshlrev_b64 v[8:9], 3, v[8:9]
	v_add3_u32 v11, v11, v15, v14
	v_lshlrev_b64 v[10:11], 3, v[10:11]
	s_cselect_b32 s33, s18, 0
	s_cmp_gt_i32 s33, 0
	v_add_co_u32_e32 v8, vcc, v8, v10
	s_mul_i32 s8, s25, s37
	s_mul_hi_u32 s25, s24, s37
	s_cselect_b64 s[18:19], -1, 0
	v_addc_co_u32_e32 v9, vcc, v9, v11, vcc
	s_add_i32 s25, s25, s8
	s_mul_i32 s8, s27, s36
	s_mul_hi_u32 s27, s26, s36
	v_cmp_gt_i64_e64 s[0:1], s[14:15], v[4:5]
	v_cmp_gt_i64_e64 s[2:3], s[16:17], v[0:1]
	v_mov_b32_e32 v10, s41
	v_add_co_u32_e32 v8, vcc, s40, v8
	s_mul_i32 s24, s24, s37
	s_add_i32 s27, s27, s8
	s_mul_i32 s26, s26, s36
	s_mov_b64 s[6:7], 0
	s_lshl_b64 s[34:35], s[38:39], 8
	v_addc_co_u32_e32 v9, vcc, v10, v9, vcc
	s_lshl_b64 s[24:25], s[24:25], 4
	s_lshl_b64 s[26:27], s[26:27], 5
	s_branch .LBB4_3
.LBB4_2:                                ;   in Loop: Header=BB4_3 Depth=1
	s_or_b64 exec, exec, s[36:37]
	v_mov_b32_e32 v10, s29
	v_add_co_u32_e32 v2, vcc, s28, v2
	v_addc_co_u32_e32 v3, vcc, v3, v10, vcc
	v_cmp_le_i64_e32 vcc, s[12:13], v[2:3]
	v_mov_b32_e32 v10, s25
	s_or_b64 s[6:7], vcc, s[6:7]
	v_add_co_u32_e32 v8, vcc, s24, v8
	v_addc_co_u32_e32 v9, vcc, v9, v10, vcc
	s_andn2_b64 exec, exec, s[6:7]
	s_cbranch_execz .LBB4_12
.LBB4_3:                                ; =>This Loop Header: Depth=1
                                        ;     Child Loop BB4_6 Depth 2
                                        ;       Child Loop BB4_9 Depth 3
                                        ;         Child Loop BB4_11 Depth 4
	s_and_saveexec_b64 s[36:37], s[0:1]
	s_cbranch_execz .LBB4_2
; %bb.4:                                ;   in Loop: Header=BB4_3 Depth=1
	v_mul_lo_u32 v12, v3, s20
	v_mul_lo_u32 v13, v2, s21
	v_mad_u64_u32 v[10:11], s[38:39], v2, s20, 0
	s_load_dword s8, s[4:5], 0x0
	v_add3_u32 v11, v11, v13, v12
	v_lshlrev_b64 v[10:11], 3, v[10:11]
	v_mov_b32_e32 v12, s11
	v_add_co_u32_e32 v26, vcc, s10, v10
	v_addc_co_u32_e32 v27, vcc, v12, v11, vcc
	s_waitcnt lgkmcnt(0)
	s_mul_i32 s40, s35, s8
	s_mul_hi_u32 s41, s34, s8
	v_mov_b32_e32 v11, v9
	v_mov_b32_e32 v13, v5
	s_lshl_b64 s[38:39], s[8:9], 5
	s_add_i32 s46, s41, s40
	s_mul_i32 s8, s34, s8
	s_mov_b64 s[40:41], 0
	v_mov_b32_e32 v10, v8
	v_mov_b32_e32 v12, v4
	s_branch .LBB4_6
.LBB4_5:                                ;   in Loop: Header=BB4_6 Depth=2
	s_or_b64 exec, exec, s[42:43]
	v_mov_b32_e32 v14, s31
	v_add_co_u32_e32 v12, vcc, s30, v12
	v_addc_co_u32_e32 v13, vcc, v13, v14, vcc
	v_cmp_le_i64_e32 vcc, s[14:15], v[12:13]
	v_mov_b32_e32 v14, s27
	s_or_b64 s[40:41], vcc, s[40:41]
	v_add_co_u32_e32 v10, vcc, s26, v10
	v_addc_co_u32_e32 v11, vcc, v11, v14, vcc
	s_andn2_b64 exec, exec, s[40:41]
	s_cbranch_execz .LBB4_2
.LBB4_6:                                ;   Parent Loop BB4_3 Depth=1
                                        ; =>  This Loop Header: Depth=2
                                        ;       Child Loop BB4_9 Depth 3
                                        ;         Child Loop BB4_11 Depth 4
	s_and_saveexec_b64 s[42:43], s[2:3]
	s_cbranch_execz .LBB4_5
; %bb.7:                                ;   in Loop: Header=BB4_6 Depth=2
	v_mul_lo_u32 v16, v13, s22
	v_mul_lo_u32 v17, v12, s23
	v_mad_u64_u32 v[14:15], s[44:45], v12, s22, 0
	s_mov_b64 s[44:45], 0
	v_add3_u32 v15, v15, v17, v16
	v_lshlrev_b64 v[14:15], 3, v[14:15]
	v_mov_b32_e32 v17, v1
	v_add_co_u32_e32 v28, vcc, v26, v14
	v_addc_co_u32_e32 v29, vcc, v27, v15, vcc
	v_mov_b32_e32 v15, v7
	v_mov_b32_e32 v14, v6
	;; [unrolled: 1-line block ×3, first 2 shown]
	s_branch .LBB4_9
.LBB4_8:                                ;   in Loop: Header=BB4_9 Depth=3
	v_mov_b32_e32 v18, s39
	v_add_co_u32_e32 v16, vcc, s38, v16
	v_addc_co_u32_e32 v17, vcc, v17, v18, vcc
	v_cmp_le_i64_e32 vcc, s[16:17], v[16:17]
	v_mov_b32_e32 v18, s46
	s_or_b64 s[44:45], vcc, s[44:45]
	v_add_co_u32_e32 v14, vcc, s8, v14
	v_addc_co_u32_e32 v15, vcc, v15, v18, vcc
	s_andn2_b64 exec, exec, s[44:45]
	s_cbranch_execz .LBB4_5
.LBB4_9:                                ;   Parent Loop BB4_3 Depth=1
                                        ;     Parent Loop BB4_6 Depth=2
                                        ; =>    This Loop Header: Depth=3
                                        ;         Child Loop BB4_11 Depth 4
	s_andn2_b64 vcc, exec, s[18:19]
	s_cbranch_vccnz .LBB4_8
; %bb.10:                               ;   in Loop: Header=BB4_9 Depth=3
	v_lshlrev_b64 v[18:19], 3, v[16:17]
	v_mov_b32_e32 v23, v11
	v_add_co_u32_e32 v18, vcc, v28, v18
	v_addc_co_u32_e32 v19, vcc, v29, v19, vcc
	global_load_dwordx2 v[20:21], v[18:19], off
	v_mov_b32_e32 v25, v15
	v_mov_b32_e32 v22, v10
	;; [unrolled: 1-line block ×3, first 2 shown]
	s_mov_b32 s47, s33
.LBB4_11:                               ;   Parent Loop BB4_3 Depth=1
                                        ;     Parent Loop BB4_6 Depth=2
                                        ;       Parent Loop BB4_9 Depth=3
                                        ; =>      This Inner Loop Header: Depth=4
	global_load_dwordx2 v[30:31], v[24:25], off
	global_load_dwordx2 v[32:33], v[22:23], off
	v_add_co_u32_e32 v24, vcc, 8, v24
	v_addc_co_u32_e32 v25, vcc, 0, v25, vcc
	s_add_i32 s47, s47, -1
	v_add_co_u32_e32 v22, vcc, 8, v22
	v_addc_co_u32_e32 v23, vcc, 0, v23, vcc
	s_cmp_lg_u32 s47, 0
	s_waitcnt vmcnt(0)
	v_fma_f64 v[20:21], v[30:31], v[32:33], v[20:21]
	global_store_dwordx2 v[18:19], v[20:21], off
	s_cbranch_scc1 .LBB4_11
	s_branch .LBB4_8
.LBB4_12:
	s_endpgm
	.section	.rodata,"a",@progbits
	.p2align	6, 0x0
	.amdhsa_kernel _ZN4RAJA34launch_new_reduce_global_fcn_fixedIZN8rajaperf4apps6LTIMES17runHipVariantImplILm256ELm1EEEvNS1_9VariantIDEEUlNS_14LaunchContextTINS_3hip33LaunchContextIndicesAndDimsPolicyINS7_14IndicesAndDimsILb0ELb0ELb0ELb0EEEEEEEE_Li256ENS_4expt15ForallParamPackIJEEEEEvT_T1_
		.amdhsa_group_segment_fixed_size 0
		.amdhsa_private_segment_fixed_size 0
		.amdhsa_kernarg_size 576
		.amdhsa_user_sgpr_count 6
		.amdhsa_user_sgpr_private_segment_buffer 1
		.amdhsa_user_sgpr_dispatch_ptr 0
		.amdhsa_user_sgpr_queue_ptr 0
		.amdhsa_user_sgpr_kernarg_segment_ptr 1
		.amdhsa_user_sgpr_dispatch_id 0
		.amdhsa_user_sgpr_flat_scratch_init 0
		.amdhsa_user_sgpr_private_segment_size 0
		.amdhsa_uses_dynamic_stack 0
		.amdhsa_system_sgpr_private_segment_wavefront_offset 0
		.amdhsa_system_sgpr_workgroup_id_x 1
		.amdhsa_system_sgpr_workgroup_id_y 1
		.amdhsa_system_sgpr_workgroup_id_z 1
		.amdhsa_system_sgpr_workgroup_info 0
		.amdhsa_system_vgpr_workitem_id 2
		.amdhsa_next_free_vgpr 34
		.amdhsa_next_free_sgpr 48
		.amdhsa_reserve_vcc 1
		.amdhsa_reserve_flat_scratch 0
		.amdhsa_float_round_mode_32 0
		.amdhsa_float_round_mode_16_64 0
		.amdhsa_float_denorm_mode_32 3
		.amdhsa_float_denorm_mode_16_64 3
		.amdhsa_dx10_clamp 1
		.amdhsa_ieee_mode 1
		.amdhsa_fp16_overflow 0
		.amdhsa_exception_fp_ieee_invalid_op 0
		.amdhsa_exception_fp_denorm_src 0
		.amdhsa_exception_fp_ieee_div_zero 0
		.amdhsa_exception_fp_ieee_overflow 0
		.amdhsa_exception_fp_ieee_underflow 0
		.amdhsa_exception_fp_ieee_inexact 0
		.amdhsa_exception_int_div_zero 0
	.end_amdhsa_kernel
	.section	.text._ZN4RAJA34launch_new_reduce_global_fcn_fixedIZN8rajaperf4apps6LTIMES17runHipVariantImplILm256ELm1EEEvNS1_9VariantIDEEUlNS_14LaunchContextTINS_3hip33LaunchContextIndicesAndDimsPolicyINS7_14IndicesAndDimsILb0ELb0ELb0ELb0EEEEEEEE_Li256ENS_4expt15ForallParamPackIJEEEEEvT_T1_,"axG",@progbits,_ZN4RAJA34launch_new_reduce_global_fcn_fixedIZN8rajaperf4apps6LTIMES17runHipVariantImplILm256ELm1EEEvNS1_9VariantIDEEUlNS_14LaunchContextTINS_3hip33LaunchContextIndicesAndDimsPolicyINS7_14IndicesAndDimsILb0ELb0ELb0ELb0EEEEEEEE_Li256ENS_4expt15ForallParamPackIJEEEEEvT_T1_,comdat
.Lfunc_end4:
	.size	_ZN4RAJA34launch_new_reduce_global_fcn_fixedIZN8rajaperf4apps6LTIMES17runHipVariantImplILm256ELm1EEEvNS1_9VariantIDEEUlNS_14LaunchContextTINS_3hip33LaunchContextIndicesAndDimsPolicyINS7_14IndicesAndDimsILb0ELb0ELb0ELb0EEEEEEEE_Li256ENS_4expt15ForallParamPackIJEEEEEvT_T1_, .Lfunc_end4-_ZN4RAJA34launch_new_reduce_global_fcn_fixedIZN8rajaperf4apps6LTIMES17runHipVariantImplILm256ELm1EEEvNS1_9VariantIDEEUlNS_14LaunchContextTINS_3hip33LaunchContextIndicesAndDimsPolicyINS7_14IndicesAndDimsILb0ELb0ELb0ELb0EEEEEEEE_Li256ENS_4expt15ForallParamPackIJEEEEEvT_T1_
                                        ; -- End function
	.set _ZN4RAJA34launch_new_reduce_global_fcn_fixedIZN8rajaperf4apps6LTIMES17runHipVariantImplILm256ELm1EEEvNS1_9VariantIDEEUlNS_14LaunchContextTINS_3hip33LaunchContextIndicesAndDimsPolicyINS7_14IndicesAndDimsILb0ELb0ELb0ELb0EEEEEEEE_Li256ENS_4expt15ForallParamPackIJEEEEEvT_T1_.num_vgpr, 34
	.set _ZN4RAJA34launch_new_reduce_global_fcn_fixedIZN8rajaperf4apps6LTIMES17runHipVariantImplILm256ELm1EEEvNS1_9VariantIDEEUlNS_14LaunchContextTINS_3hip33LaunchContextIndicesAndDimsPolicyINS7_14IndicesAndDimsILb0ELb0ELb0ELb0EEEEEEEE_Li256ENS_4expt15ForallParamPackIJEEEEEvT_T1_.num_agpr, 0
	.set _ZN4RAJA34launch_new_reduce_global_fcn_fixedIZN8rajaperf4apps6LTIMES17runHipVariantImplILm256ELm1EEEvNS1_9VariantIDEEUlNS_14LaunchContextTINS_3hip33LaunchContextIndicesAndDimsPolicyINS7_14IndicesAndDimsILb0ELb0ELb0ELb0EEEEEEEE_Li256ENS_4expt15ForallParamPackIJEEEEEvT_T1_.numbered_sgpr, 48
	.set _ZN4RAJA34launch_new_reduce_global_fcn_fixedIZN8rajaperf4apps6LTIMES17runHipVariantImplILm256ELm1EEEvNS1_9VariantIDEEUlNS_14LaunchContextTINS_3hip33LaunchContextIndicesAndDimsPolicyINS7_14IndicesAndDimsILb0ELb0ELb0ELb0EEEEEEEE_Li256ENS_4expt15ForallParamPackIJEEEEEvT_T1_.num_named_barrier, 0
	.set _ZN4RAJA34launch_new_reduce_global_fcn_fixedIZN8rajaperf4apps6LTIMES17runHipVariantImplILm256ELm1EEEvNS1_9VariantIDEEUlNS_14LaunchContextTINS_3hip33LaunchContextIndicesAndDimsPolicyINS7_14IndicesAndDimsILb0ELb0ELb0ELb0EEEEEEEE_Li256ENS_4expt15ForallParamPackIJEEEEEvT_T1_.private_seg_size, 0
	.set _ZN4RAJA34launch_new_reduce_global_fcn_fixedIZN8rajaperf4apps6LTIMES17runHipVariantImplILm256ELm1EEEvNS1_9VariantIDEEUlNS_14LaunchContextTINS_3hip33LaunchContextIndicesAndDimsPolicyINS7_14IndicesAndDimsILb0ELb0ELb0ELb0EEEEEEEE_Li256ENS_4expt15ForallParamPackIJEEEEEvT_T1_.uses_vcc, 1
	.set _ZN4RAJA34launch_new_reduce_global_fcn_fixedIZN8rajaperf4apps6LTIMES17runHipVariantImplILm256ELm1EEEvNS1_9VariantIDEEUlNS_14LaunchContextTINS_3hip33LaunchContextIndicesAndDimsPolicyINS7_14IndicesAndDimsILb0ELb0ELb0ELb0EEEEEEEE_Li256ENS_4expt15ForallParamPackIJEEEEEvT_T1_.uses_flat_scratch, 0
	.set _ZN4RAJA34launch_new_reduce_global_fcn_fixedIZN8rajaperf4apps6LTIMES17runHipVariantImplILm256ELm1EEEvNS1_9VariantIDEEUlNS_14LaunchContextTINS_3hip33LaunchContextIndicesAndDimsPolicyINS7_14IndicesAndDimsILb0ELb0ELb0ELb0EEEEEEEE_Li256ENS_4expt15ForallParamPackIJEEEEEvT_T1_.has_dyn_sized_stack, 0
	.set _ZN4RAJA34launch_new_reduce_global_fcn_fixedIZN8rajaperf4apps6LTIMES17runHipVariantImplILm256ELm1EEEvNS1_9VariantIDEEUlNS_14LaunchContextTINS_3hip33LaunchContextIndicesAndDimsPolicyINS7_14IndicesAndDimsILb0ELb0ELb0ELb0EEEEEEEE_Li256ENS_4expt15ForallParamPackIJEEEEEvT_T1_.has_recursion, 0
	.set _ZN4RAJA34launch_new_reduce_global_fcn_fixedIZN8rajaperf4apps6LTIMES17runHipVariantImplILm256ELm1EEEvNS1_9VariantIDEEUlNS_14LaunchContextTINS_3hip33LaunchContextIndicesAndDimsPolicyINS7_14IndicesAndDimsILb0ELb0ELb0ELb0EEEEEEEE_Li256ENS_4expt15ForallParamPackIJEEEEEvT_T1_.has_indirect_call, 0
	.section	.AMDGPU.csdata,"",@progbits
; Kernel info:
; codeLenInByte = 876
; TotalNumSgprs: 52
; NumVgprs: 34
; ScratchSize: 0
; MemoryBound: 0
; FloatMode: 240
; IeeeMode: 1
; LDSByteSize: 0 bytes/workgroup (compile time only)
; SGPRBlocks: 6
; VGPRBlocks: 8
; NumSGPRsForWavesPerEU: 52
; NumVGPRsForWavesPerEU: 34
; Occupancy: 7
; WaveLimiterHint : 0
; COMPUTE_PGM_RSRC2:SCRATCH_EN: 0
; COMPUTE_PGM_RSRC2:USER_SGPR: 6
; COMPUTE_PGM_RSRC2:TRAP_HANDLER: 0
; COMPUTE_PGM_RSRC2:TGID_X_EN: 1
; COMPUTE_PGM_RSRC2:TGID_Y_EN: 1
; COMPUTE_PGM_RSRC2:TGID_Z_EN: 1
; COMPUTE_PGM_RSRC2:TIDIG_COMP_CNT: 2
	.section	.AMDGPU.gpr_maximums,"",@progbits
	.set amdgpu.max_num_vgpr, 0
	.set amdgpu.max_num_agpr, 0
	.set amdgpu.max_num_sgpr, 0
	.section	.AMDGPU.csdata,"",@progbits
	.type	__hip_cuid_ba349b290e8164ff,@object ; @__hip_cuid_ba349b290e8164ff
	.section	.bss,"aw",@nobits
	.globl	__hip_cuid_ba349b290e8164ff
__hip_cuid_ba349b290e8164ff:
	.byte	0                               ; 0x0
	.size	__hip_cuid_ba349b290e8164ff, 1

	.ident	"AMD clang version 22.0.0git (https://github.com/RadeonOpenCompute/llvm-project roc-7.2.4 26084 f58b06dce1f9c15707c5f808fd002e18c2accf7e)"
	.section	".note.GNU-stack","",@progbits
	.addrsig
	.addrsig_sym __hip_cuid_ba349b290e8164ff
	.amdgpu_metadata
---
amdhsa.kernels:
  - .args:
      - .offset:         0
        .size:           104
        .value_kind:     by_value
      - .offset:         104
        .size:           72
        .value_kind:     by_value
      - .offset:         176
        .size:           104
        .value_kind:     by_value
      - .offset:         280
        .size:           8
        .value_kind:     by_value
      - .offset:         288
        .size:           8
        .value_kind:     by_value
      - .offset:         296
        .size:           8
        .value_kind:     by_value
      - .offset:         304
        .size:           8
        .value_kind:     by_value
    .group_segment_fixed_size: 0
    .kernarg_segment_align: 8
    .kernarg_segment_size: 312
    .language:       OpenCL C
    .language_version:
      - 2
      - 0
    .max_flat_workgroup_size: 256
    .name:           _ZN8rajaperf4apps6ltimesILm32ELm4ELm2EEEvN4RAJA8internal13TypedViewBaseIdPdNS2_6detail15LayoutBase_implIN4camp7int_seqIlJLl0ELl1ELl2EEEElLl2EEENS8_4listIJNS0_10ltimes_idx2IZENSD_2IGENSD_2IMEEEEEENS4_IdS5_NS7_INS9_IlJLl0ELl1EEEElLl1EEENSC_IJSG_NSD_2IDEEEEEENS4_IdS5_SB_NSC_IJSE_SF_SL_EEEEESL_SG_SF_SE_
    .private_segment_fixed_size: 0
    .sgpr_count:     24
    .sgpr_spill_count: 0
    .symbol:         _ZN8rajaperf4apps6ltimesILm32ELm4ELm2EEEvN4RAJA8internal13TypedViewBaseIdPdNS2_6detail15LayoutBase_implIN4camp7int_seqIlJLl0ELl1ELl2EEEElLl2EEENS8_4listIJNS0_10ltimes_idx2IZENSD_2IGENSD_2IMEEEEEENS4_IdS5_NS7_INS9_IlJLl0ELl1EEEElLl1EEENSC_IJSG_NSD_2IDEEEEEENS4_IdS5_SB_NSC_IJSE_SF_SL_EEEEESL_SG_SF_SE_.kd
    .uniform_work_group_size: 1
    .uses_dynamic_stack: false
    .vgpr_count:     17
    .vgpr_spill_count: 0
    .wavefront_size: 64
  - .args:
      - .offset:         0
        .size:           8
        .value_kind:     by_value
      - .offset:         8
        .size:           8
        .value_kind:     by_value
      - .offset:         16
        .size:           8
        .value_kind:     by_value
      - .offset:         24
        .size:           288
        .value_kind:     by_value
    .group_segment_fixed_size: 0
    .kernarg_segment_align: 8
    .kernarg_segment_size: 312
    .language:       OpenCL C
    .language_version:
      - 2
      - 0
    .max_flat_workgroup_size: 256
    .name:           _ZN8rajaperf4apps10ltimes_lamILm32ELm4ELm2EZNS0_6LTIMES17runHipVariantImplILm256ELm0EEEvNS_9VariantIDEEUlNS0_10ltimes_idx2IZENS5_2IGENS5_2IMEE_EEvS8_S7_S6_T2_
    .private_segment_fixed_size: 0
    .sgpr_count:     24
    .sgpr_spill_count: 0
    .symbol:         _ZN8rajaperf4apps10ltimes_lamILm32ELm4ELm2EZNS0_6LTIMES17runHipVariantImplILm256ELm0EEEvNS_9VariantIDEEUlNS0_10ltimes_idx2IZENS5_2IGENS5_2IMEE_EEvS8_S7_S6_T2_.kd
    .uniform_work_group_size: 1
    .uses_dynamic_stack: false
    .vgpr_count:     17
    .vgpr_spill_count: 0
    .wavefront_size: 64
  - .args:
      - .offset:         0
        .size:           416
        .value_kind:     by_value
    .group_segment_fixed_size: 0
    .kernarg_segment_align: 8
    .kernarg_segment_size: 416
    .language:       OpenCL C
    .language_version:
      - 2
      - 0
    .max_flat_workgroup_size: 256
    .name:           _ZN4RAJA8internal22HipKernelLauncherFixedILi256ENS0_8LoopDataIN4camp5tupleIJNS_4SpanINS_9Iterators16numeric_iteratorIN8rajaperf4apps10ltimes_idx2IDElPSB_EElEENS5_INS7_INSA_2IZElPSF_EElEENS5_INS7_INSA_2IGElPSJ_EElEENS5_INS7_INSA_2IMElPSN_EElEEEEENS4_IJEEENS3_9resources2v13HipEJZNS9_6LTIMES17runHipVariantImplILm256ELm0EEEvNS8_9VariantIDEEUlSB_SF_SJ_SN_E_EEENS0_24HipStatementListExecutorIS10_NS3_4listIJNS_9statement3ForILl1ENS_6policy3hip11hip_indexerINS_17iteration_mapping6DirectELNS_23kernel_sync_requirementE0EJNS_3hip11IndexGlobalILNS_9named_dimE2ELi2ELi0EEEEEEJNS14_ILl2ENS17_IS19_LS1A_0EJNS1C_ILS1D_1ELi4ELi0EEEEEEJNS14_ILl3ENS17_IS19_LS1A_0EJNS1C_ILS1D_0ELi32ELi0EEEEEEJNS14_ILl0ENS15_10sequential8seq_execEJNS13_6LambdaILl0EJEEEEEEEEEEEEEEEEEENS0_9LoopTypesINS12_IJvvvvEEES1U_EEEEEEvT0_
    .private_segment_fixed_size: 0
    .sgpr_count:     36
    .sgpr_spill_count: 0
    .symbol:         _ZN4RAJA8internal22HipKernelLauncherFixedILi256ENS0_8LoopDataIN4camp5tupleIJNS_4SpanINS_9Iterators16numeric_iteratorIN8rajaperf4apps10ltimes_idx2IDElPSB_EElEENS5_INS7_INSA_2IZElPSF_EElEENS5_INS7_INSA_2IGElPSJ_EElEENS5_INS7_INSA_2IMElPSN_EElEEEEENS4_IJEEENS3_9resources2v13HipEJZNS9_6LTIMES17runHipVariantImplILm256ELm0EEEvNS8_9VariantIDEEUlSB_SF_SJ_SN_E_EEENS0_24HipStatementListExecutorIS10_NS3_4listIJNS_9statement3ForILl1ENS_6policy3hip11hip_indexerINS_17iteration_mapping6DirectELNS_23kernel_sync_requirementE0EJNS_3hip11IndexGlobalILNS_9named_dimE2ELi2ELi0EEEEEEJNS14_ILl2ENS17_IS19_LS1A_0EJNS1C_ILS1D_1ELi4ELi0EEEEEEJNS14_ILl3ENS17_IS19_LS1A_0EJNS1C_ILS1D_0ELi32ELi0EEEEEEJNS14_ILl0ENS15_10sequential8seq_execEJNS13_6LambdaILl0EJEEEEEEEEEEEEEEEEEENS0_9LoopTypesINS12_IJvvvvEEES1U_EEEEEEvT0_.kd
    .uniform_work_group_size: 1
    .uses_dynamic_stack: false
    .vgpr_count:     15
    .vgpr_spill_count: 0
    .wavefront_size: 64
  - .args:
      - .offset:         0
        .size:           8
        .value_kind:     by_value
      - .offset:         8
        .size:           8
        .value_kind:     by_value
      - .offset:         16
        .size:           8
        .value_kind:     by_value
      - .offset:         24
        .size:           288
        .value_kind:     by_value
    .group_segment_fixed_size: 0
    .kernarg_segment_align: 8
    .kernarg_segment_size: 312
    .language:       OpenCL C
    .language_version:
      - 2
      - 0
    .max_flat_workgroup_size: 256
    .name:           _ZN8rajaperf4apps10ltimes_lamILm32ELm4ELm2EZNS0_6LTIMES17runHipVariantImplILm256ELm1EEEvNS_9VariantIDEEUlNS0_10ltimes_idx2IZENS5_2IGENS5_2IMEE_EEvS8_S7_S6_T2_
    .private_segment_fixed_size: 0
    .sgpr_count:     24
    .sgpr_spill_count: 0
    .symbol:         _ZN8rajaperf4apps10ltimes_lamILm32ELm4ELm2EZNS0_6LTIMES17runHipVariantImplILm256ELm1EEEvNS_9VariantIDEEUlNS0_10ltimes_idx2IZENS5_2IGENS5_2IMEE_EEvS8_S7_S6_T2_.kd
    .uniform_work_group_size: 1
    .uses_dynamic_stack: false
    .vgpr_count:     17
    .vgpr_spill_count: 0
    .wavefront_size: 64
  - .args:
      - .offset:         0
        .size:           312
        .value_kind:     by_value
      - .offset:         312
        .size:           1
        .value_kind:     by_value
      - .offset:         320
        .size:           4
        .value_kind:     hidden_block_count_x
      - .offset:         324
        .size:           4
        .value_kind:     hidden_block_count_y
      - .offset:         328
        .size:           4
        .value_kind:     hidden_block_count_z
      - .offset:         332
        .size:           2
        .value_kind:     hidden_group_size_x
      - .offset:         334
        .size:           2
        .value_kind:     hidden_group_size_y
      - .offset:         336
        .size:           2
        .value_kind:     hidden_group_size_z
      - .offset:         338
        .size:           2
        .value_kind:     hidden_remainder_x
      - .offset:         340
        .size:           2
        .value_kind:     hidden_remainder_y
      - .offset:         342
        .size:           2
        .value_kind:     hidden_remainder_z
      - .offset:         360
        .size:           8
        .value_kind:     hidden_global_offset_x
      - .offset:         368
        .size:           8
        .value_kind:     hidden_global_offset_y
      - .offset:         376
        .size:           8
        .value_kind:     hidden_global_offset_z
      - .offset:         384
        .size:           2
        .value_kind:     hidden_grid_dims
    .group_segment_fixed_size: 0
    .kernarg_segment_align: 8
    .kernarg_segment_size: 576
    .language:       OpenCL C
    .language_version:
      - 2
      - 0
    .max_flat_workgroup_size: 256
    .name:           _ZN4RAJA34launch_new_reduce_global_fcn_fixedIZN8rajaperf4apps6LTIMES17runHipVariantImplILm256ELm1EEEvNS1_9VariantIDEEUlNS_14LaunchContextTINS_3hip33LaunchContextIndicesAndDimsPolicyINS7_14IndicesAndDimsILb0ELb0ELb0ELb0EEEEEEEE_Li256ENS_4expt15ForallParamPackIJEEEEEvT_T1_
    .private_segment_fixed_size: 0
    .sgpr_count:     52
    .sgpr_spill_count: 0
    .symbol:         _ZN4RAJA34launch_new_reduce_global_fcn_fixedIZN8rajaperf4apps6LTIMES17runHipVariantImplILm256ELm1EEEvNS1_9VariantIDEEUlNS_14LaunchContextTINS_3hip33LaunchContextIndicesAndDimsPolicyINS7_14IndicesAndDimsILb0ELb0ELb0ELb0EEEEEEEE_Li256ENS_4expt15ForallParamPackIJEEEEEvT_T1_.kd
    .uniform_work_group_size: 1
    .uses_dynamic_stack: false
    .vgpr_count:     34
    .vgpr_spill_count: 0
    .wavefront_size: 64
amdhsa.target:   amdgcn-amd-amdhsa--gfx906
amdhsa.version:
  - 1
  - 2
...

	.end_amdgpu_metadata
